;; amdgpu-corpus repo=zjin-lcf/HeCBench kind=compiled arch=gfx1201 opt=O3
	.amdgcn_target "amdgcn-amd-amdhsa--gfx1201"
	.amdhsa_code_object_version 6
	.text
	.protected	_Z9fft1D_512P15HIP_vector_typeIdLj2EE ; -- Begin function _Z9fft1D_512P15HIP_vector_typeIdLj2EE
	.globl	_Z9fft1D_512P15HIP_vector_typeIdLj2EE
	.p2align	8
	.type	_Z9fft1D_512P15HIP_vector_typeIdLj2EE,@function
_Z9fft1D_512P15HIP_vector_typeIdLj2EE:  ; @_Z9fft1D_512P15HIP_vector_typeIdLj2EE
; %bb.0:
	s_load_b64 s[0:1], s[0:1], 0x0
	v_lshl_add_u32 v1, ttmp9, 9, v0
	s_mov_b32 s4, 0x54442d18
	s_mov_b32 s6, 0x54442d18
	;; [unrolled: 1-line block ×4, first 2 shown]
	v_ashrrev_i32_e32 v2, 31, v1
	s_mov_b32 s18, 0x252049c0
	s_mov_b32 s20, 0x9037ab78
	;; [unrolled: 1-line block ×4, first 2 shown]
	v_lshlrev_b64_e32 v[1:2], 4, v[1:2]
	s_mov_b32 s26, 0x19f4ec90
	s_mov_b32 s28, 0x16c16967
	;; [unrolled: 1-line block ×8, first 2 shown]
	s_wait_kmcnt 0x0
	v_add_co_u32 v7, vcc_lo, s0, v1
	s_delay_alu instid0(VALU_DEP_1)
	v_add_co_ci_u32_e64 v8, null, s1, v2, vcc_lo
	s_mov_b32 s0, 0x667f3bcd
	s_mov_b32 s1, 0x3fe6a09e
	;; [unrolled: 1-line block ×3, first 2 shown]
	s_clause 0x7
	global_load_b128 v[1:4], v[7:8], off offset:3072
	global_load_b128 v[9:12], v[7:8], off offset:7168
	;; [unrolled: 1-line block ×6, first 2 shown]
	global_load_b128 v[29:32], v[7:8], off
	global_load_b128 v[33:36], v[7:8], off offset:4096
	s_mov_b32 s48, 32
	s_mov_b32 s33, 48
	;; [unrolled: 1-line block ×3, first 2 shown]
	s_movk_i32 s50, 0x50
	s_movk_i32 s51, 0x60
	;; [unrolled: 1-line block ×3, first 2 shown]
	s_mov_b32 s52, 0
	s_mov_b32 s5, 0xc01921fb
	;; [unrolled: 1-line block ×22, first 2 shown]
	s_getpc_b64 s[2:3]
	s_sext_i32_i16 s3, s3
	s_add_co_u32 s2, s2, __const._Z9fft1D_512P15HIP_vector_typeIdLj2EE.reversed@rel32@lo+12
	s_add_co_ci_u32 s3, s3, __const._Z9fft1D_512P15HIP_vector_typeIdLj2EE.reversed@rel32@hi+20
	s_wait_loadcnt 0x6
	v_add_f64_e64 v[5:6], v[1:2], -v[9:10]
	v_add_f64_e64 v[37:38], v[3:4], -v[11:12]
	s_wait_loadcnt 0x4
	v_add_f64_e64 v[39:40], v[13:14], -v[17:18]
	v_add_f64_e64 v[41:42], v[15:16], -v[19:20]
	v_add_f64_e32 v[13:14], v[13:14], v[17:18]
	v_add_f64_e32 v[15:16], v[15:16], v[19:20]
	v_add_f64_e32 v[1:2], v[1:2], v[9:10]
	v_add_f64_e32 v[3:4], v[3:4], v[11:12]
	s_wait_loadcnt 0x2
	v_add_f64_e64 v[9:10], v[21:22], -v[25:26]
	v_add_f64_e64 v[11:12], v[23:24], -v[27:28]
	v_add_f64_e32 v[21:22], v[21:22], v[25:26]
	v_add_f64_e32 v[23:24], v[23:24], v[27:28]
	s_wait_loadcnt 0x0
	v_add_f64_e64 v[25:26], v[29:30], -v[33:34]
	v_add_f64_e64 v[43:44], v[37:38], -v[5:6]
	v_add_f64_e64 v[5:6], -v[37:38], -v[5:6]
	v_add_f64_e32 v[17:18], v[39:40], v[41:42]
	v_add_f64_e64 v[19:20], v[41:42], -v[39:40]
	v_add_f64_e32 v[39:40], v[29:30], v[33:34]
	v_add_f64_e32 v[41:42], v[31:32], v[35:36]
	v_add_f64_e64 v[27:28], v[13:14], -v[1:2]
	v_add_f64_e64 v[29:30], v[15:16], -v[3:4]
	;; [unrolled: 1-line block ×3, first 2 shown]
	v_fma_f64 v[33:34], v[9:10], 0, v[11:12]
	v_fma_f64 v[9:10], v[11:12], 0, -v[9:10]
	v_add_f64_e32 v[13:14], v[13:14], v[1:2]
	v_add_f64_e32 v[15:16], v[15:16], v[3:4]
	s_wait_alu 0xfffe
	v_mul_f64_e32 v[37:38], s[0:1], v[43:44]
	v_mul_f64_e32 v[5:6], s[0:1], v[5:6]
	v_add_f64_e32 v[43:44], v[39:40], v[21:22]
	v_add_f64_e32 v[45:46], v[41:42], v[23:24]
	v_add_f64_e64 v[21:22], v[39:40], -v[21:22]
	v_add_f64_e64 v[23:24], v[41:42], -v[23:24]
	v_fma_f64 v[39:40], v[27:28], 0, v[29:30]
	v_fma_f64 v[27:28], v[29:30], 0, -v[27:28]
	v_add_f64_e32 v[41:42], v[31:32], v[9:10]
	v_add_f64_e64 v[49:50], v[31:32], -v[9:10]
	v_add_f64_e32 v[29:30], v[25:26], v[33:34]
	v_add_f64_e64 v[47:48], v[25:26], -v[33:34]
	v_mov_b32_e32 v9, 0
	v_fma_f64 v[11:12], v[17:18], s[0:1], -v[37:38]
	v_fma_f64 v[35:36], v[19:20], s[0:1], -v[5:6]
	v_fma_f64 v[37:38], v[17:18], s[0:1], v[37:38]
	v_fma_f64 v[5:6], v[19:20], s[0:1], v[5:6]
	v_add_f64_e32 v[1:2], v[43:44], v[13:14]
	v_add_f64_e32 v[3:4], v[45:46], v[15:16]
	v_add_f64_e64 v[13:14], v[43:44], -v[13:14]
	v_add_f64_e64 v[15:16], v[45:46], -v[15:16]
	v_add_f64_e32 v[17:18], v[21:22], v[39:40]
	v_add_f64_e64 v[21:22], v[21:22], -v[39:40]
	v_add_f64_e32 v[19:20], v[23:24], v[27:28]
	v_add_f64_e64 v[23:24], v[23:24], -v[27:28]
	v_fma_f64 v[51:52], v[11:12], 0, v[35:36]
	v_fma_f64 v[10:11], v[35:36], 0, -v[11:12]
	v_add_f64_e32 v[25:26], v[29:30], v[37:38]
	v_add_f64_e32 v[27:28], v[41:42], v[5:6]
	v_add_f64_e64 v[29:30], v[29:30], -v[37:38]
	v_add_f64_e64 v[31:32], v[41:42], -v[5:6]
	v_add_f64_e32 v[33:34], v[47:48], v[51:52]
	v_add_f64_e32 v[35:36], v[49:50], v[10:11]
	v_add_f64_e64 v[39:40], v[49:50], -v[10:11]
	v_cvt_f64_u32_e32 v[11:12], v0
	v_add_f64_e64 v[37:38], v[47:48], -v[51:52]
	s_clause 0x7
	scratch_store_b128 off, v[1:4], off
	scratch_store_b128 off, v[13:16], off offset:16
	scratch_store_b128 off, v[17:20], off offset:32
	;; [unrolled: 1-line block ×7, first 2 shown]
	s_branch .LBB0_2
.LBB0_1:                                ;   in Loop: Header=BB0_2 Depth=1
	s_wait_alu 0xfffe
	s_or_b32 exec_lo, exec_lo, s0
	v_mul_f64_e32 v[19:20], v[15:16], v[15:16]
	v_mul_f64_e32 v[21:22], v[27:28], v[27:28]
	s_delay_alu instid0(VALU_DEP_3) | instskip(NEXT) | instid1(VALU_DEP_4)
	v_mul_f64_e32 v[46:47], 0.5, v[17:18]
	v_mul_f64_e32 v[52:53], 0.5, v[29:30]
	v_cmp_class_f64_e64 s0, v[13:14], 0x1f8
	v_and_b32_e32 v10, 1, v31
	s_add_co_i32 s52, s52, 16
	s_add_nc_u64 s[2:3], s[2:3], 4
	s_cmp_eq_u32 s52, 0x70
	v_lshlrev_b32_e32 v13, 30, v33
	v_cmp_eq_u32_e32 vcc_lo, 0, v10
	s_delay_alu instid0(VALU_DEP_2) | instskip(NEXT) | instid1(VALU_DEP_1)
	v_xor_b32_e32 v13, v13, v14
	v_and_b32_e32 v13, 0x80000000, v13
	v_fma_f64 v[23:24], v[19:20], s[36:37], s[34:35]
	v_fma_f64 v[25:26], v[21:22], s[36:37], s[34:35]
	;; [unrolled: 1-line block ×3, first 2 shown]
	v_mul_f64_e32 v[36:37], 0.5, v[19:20]
	v_fma_f64 v[38:39], v[21:22], s[22:23], s[20:21]
	v_mul_f64_e32 v[40:41], 0.5, v[21:22]
	v_mul_f64_e64 v[48:49], v[15:16], -v[19:20]
	v_mul_f64_e64 v[54:55], v[27:28], -v[21:22]
	v_fma_f64 v[23:24], v[19:20], v[23:24], s[38:39]
	v_fma_f64 v[25:26], v[21:22], v[25:26], s[38:39]
	v_fma_f64 v[34:35], v[19:20], v[34:35], s[24:25]
	v_add_f64_e64 v[42:43], -v[36:37], 1.0
	v_fma_f64 v[38:39], v[21:22], v[38:39], s[24:25]
	v_add_f64_e64 v[44:45], -v[40:41], 1.0
	v_fma_f64 v[23:24], v[19:20], v[23:24], s[40:41]
	v_fma_f64 v[25:26], v[21:22], v[25:26], s[40:41]
	;; [unrolled: 1-line block ×3, first 2 shown]
	v_add_f64_e64 v[50:51], -v[42:43], 1.0
	v_fma_f64 v[38:39], v[21:22], v[38:39], s[26:27]
	v_add_f64_e64 v[56:57], -v[44:45], 1.0
	v_fma_f64 v[23:24], v[19:20], v[23:24], s[42:43]
	v_fma_f64 v[25:26], v[21:22], v[25:26], s[42:43]
	;; [unrolled: 1-line block ×3, first 2 shown]
	v_add_f64_e64 v[36:37], v[50:51], -v[36:37]
	v_fma_f64 v[38:39], v[21:22], v[38:39], s[28:29]
	v_add_f64_e64 v[40:41], v[56:57], -v[40:41]
	v_fma_f64 v[23:24], v[48:49], v[23:24], v[46:47]
	v_fma_f64 v[25:26], v[54:55], v[25:26], v[52:53]
	v_mul_f64_e32 v[46:47], v[19:20], v[19:20]
	v_fma_f64 v[34:35], v[19:20], v[34:35], s[30:31]
	v_fma_f64 v[36:37], v[15:16], -v[17:18], v[36:37]
	v_fma_f64 v[17:18], v[19:20], v[23:24], -v[17:18]
	v_mul_f64_e32 v[19:20], v[21:22], v[21:22]
	v_fma_f64 v[23:24], v[21:22], v[38:39], s[30:31]
	v_fma_f64 v[38:39], v[27:28], -v[29:30], v[40:41]
	v_fma_f64 v[21:22], v[21:22], v[25:26], -v[29:30]
	v_fma_f64 v[25:26], v[46:47], v[34:35], v[36:37]
	v_fma_f64 v[17:18], v[48:49], s[44:45], v[17:18]
	s_delay_alu instid0(VALU_DEP_4) | instskip(NEXT) | instid1(VALU_DEP_4)
	v_fma_f64 v[19:20], v[19:20], v[23:24], v[38:39]
	v_fma_f64 v[21:22], v[54:55], s[44:45], v[21:22]
	s_delay_alu instid0(VALU_DEP_4) | instskip(NEXT) | instid1(VALU_DEP_4)
	v_add_f64_e32 v[23:24], v[42:43], v[25:26]
	v_add_f64_e64 v[15:16], v[15:16], -v[17:18]
	s_delay_alu instid0(VALU_DEP_4) | instskip(NEXT) | instid1(VALU_DEP_4)
	v_add_f64_e32 v[17:18], v[44:45], v[19:20]
	v_add_f64_e64 v[19:20], v[27:28], -v[21:22]
	s_wait_alu 0xfffd
	s_delay_alu instid0(VALU_DEP_3) | instskip(NEXT) | instid1(VALU_DEP_1)
	v_dual_cndmask_b32 v10, v15, v23 :: v_dual_and_b32 v15, 1, v33
	v_cmp_eq_u32_e64 s1, 0, v15
	s_wait_alu 0xf1ff
	s_delay_alu instid0(VALU_DEP_1) | instskip(NEXT) | instid1(VALU_DEP_4)
	v_cndmask_b32_e64 v15, v18, v20, s1
	v_cndmask_b32_e64 v14, v17, v19, s1
	s_delay_alu instid0(VALU_DEP_2) | instskip(NEXT) | instid1(VALU_DEP_2)
	v_xor_b32_e32 v15, v15, v13
	v_cndmask_b32_e64 v14, 0, v14, s0
	v_cndmask_b32_e64 v13, 0, v10, s0
	v_lshlrev_b32_e32 v10, 30, v31
	s_delay_alu instid0(VALU_DEP_4) | instskip(NEXT) | instid1(VALU_DEP_2)
	v_cndmask_b32_e64 v15, 0x7ff80000, v15, s0
	v_and_b32_e32 v10, 0x80000000, v10
	s_wait_loadcnt 0x0
	s_delay_alu instid0(VALU_DEP_2) | instskip(SKIP_2) | instid1(VALU_DEP_1)
	v_mul_f64_e32 v[17:18], v[5:6], v[14:15]
	v_mul_f64_e32 v[19:20], v[3:4], v[14:15]
	v_xor_b32_e32 v14, 0x80000000, v16
	v_cndmask_b32_e32 v14, v14, v24, vcc_lo
	s_delay_alu instid0(VALU_DEP_1) | instskip(NEXT) | instid1(VALU_DEP_1)
	v_xor_b32_e32 v10, v14, v10
	v_cndmask_b32_e64 v14, 0x7ff80000, v10, s0
	s_delay_alu instid0(VALU_DEP_1)
	v_fma_f64 v[3:4], v[3:4], v[13:14], -v[17:18]
	v_fma_f64 v[5:6], v[5:6], v[13:14], v[19:20]
	scratch_store_b128 off, v[3:6], s53 offset:16
	s_cbranch_scc1 .LBB0_10
.LBB0_2:                                ; =>This Inner Loop Header: Depth=1
	scratch_load_b128 v[3:6], off, s52 offset:16
	s_load_b32 s0, s[2:3], 0x0
	s_mov_b32 s53, s52
                                        ; implicit-def: $vgpr31
                                        ; implicit-def: $vgpr15_vgpr16
                                        ; implicit-def: $vgpr17_vgpr18
	s_wait_kmcnt 0x0
	v_cvt_f64_i32_e32 v[13:14], s0
	s_delay_alu instid0(VALU_DEP_1) | instskip(NEXT) | instid1(VALU_DEP_1)
	v_mul_f64_e32 v[13:14], s[4:5], v[13:14]
	v_ldexp_f64 v[13:14], v[13:14], -9
	s_delay_alu instid0(VALU_DEP_1) | instskip(NEXT) | instid1(VALU_DEP_1)
	v_mul_f64_e32 v[13:14], v[13:14], v[11:12]
	v_cmp_ngt_f64_e64 s0, 0x41d00000, |v[13:14]|
	v_trig_preop_f64 v[23:24], |v[13:14]|, 0
	v_trig_preop_f64 v[21:22], |v[13:14]|, 1
	v_ldexp_f64 v[25:26], |v[13:14]|, 0xffffff80
	v_trig_preop_f64 v[19:20], |v[13:14]|, 2
	v_and_b32_e32 v32, 0x7fffffff, v14
	s_and_saveexec_b32 s1, s0
	s_wait_alu 0xfffe
	s_xor_b32 s1, exec_lo, s1
	s_cbranch_execz .LBB0_4
; %bb.3:                                ;   in Loop: Header=BB0_2 Depth=1
	v_cmp_le_f64_e64 vcc_lo, 0x7b000000, |v[13:14]|
	s_mov_b32 s8, s6
	s_mov_b32 s13, s11
	s_wait_alu 0xfffd
	v_dual_cndmask_b32 v16, v32, v26 :: v_dual_cndmask_b32 v15, v13, v25
	s_delay_alu instid0(VALU_DEP_1) | instskip(SKIP_2) | instid1(VALU_DEP_3)
	v_mul_f64_e32 v[17:18], v[23:24], v[15:16]
	v_mul_f64_e32 v[27:28], v[21:22], v[15:16]
	;; [unrolled: 1-line block ×3, first 2 shown]
	v_fma_f64 v[29:30], v[23:24], v[15:16], -v[17:18]
	s_delay_alu instid0(VALU_DEP_3) | instskip(NEXT) | instid1(VALU_DEP_3)
	v_fma_f64 v[43:44], v[21:22], v[15:16], -v[27:28]
	v_fma_f64 v[15:16], v[19:20], v[15:16], -v[41:42]
	s_delay_alu instid0(VALU_DEP_3) | instskip(NEXT) | instid1(VALU_DEP_1)
	v_add_f64_e32 v[33:34], v[27:28], v[29:30]
	v_add_f64_e64 v[35:36], v[33:34], -v[27:28]
	v_add_f64_e32 v[39:40], v[17:18], v[33:34]
	s_delay_alu instid0(VALU_DEP_2) | instskip(SKIP_1) | instid1(VALU_DEP_3)
	v_add_f64_e64 v[37:38], v[33:34], -v[35:36]
	v_add_f64_e64 v[29:30], v[29:30], -v[35:36]
	v_ldexp_f64 v[35:36], v[39:40], -2
	v_add_f64_e64 v[17:18], v[39:40], -v[17:18]
	s_delay_alu instid0(VALU_DEP_4) | instskip(SKIP_1) | instid1(VALU_DEP_4)
	v_add_f64_e64 v[27:28], v[27:28], -v[37:38]
	v_add_f64_e32 v[37:38], v[41:42], v[43:44]
	v_cmp_neq_f64_e64 vcc_lo, 0x7ff00000, |v[35:36]|
	s_delay_alu instid0(VALU_DEP_4) | instskip(NEXT) | instid1(VALU_DEP_4)
	v_add_f64_e64 v[17:18], v[33:34], -v[17:18]
	v_add_f64_e32 v[27:28], v[29:30], v[27:28]
	v_fract_f64_e32 v[29:30], v[35:36]
	s_delay_alu instid0(VALU_DEP_2) | instskip(NEXT) | instid1(VALU_DEP_2)
	v_add_f64_e32 v[33:34], v[37:38], v[27:28]
	v_ldexp_f64 v[29:30], v[29:30], 2
	s_delay_alu instid0(VALU_DEP_2) | instskip(SKIP_1) | instid1(VALU_DEP_2)
	v_add_f64_e32 v[35:36], v[17:18], v[33:34]
	s_wait_alu 0xfffd
	v_dual_cndmask_b32 v30, 0, v30 :: v_dual_cndmask_b32 v29, 0, v29
	v_add_f64_e64 v[45:46], v[33:34], -v[37:38]
	s_delay_alu instid0(VALU_DEP_2) | instskip(SKIP_1) | instid1(VALU_DEP_3)
	v_add_f64_e32 v[39:40], v[35:36], v[29:30]
	v_add_f64_e64 v[17:18], v[35:36], -v[17:18]
	v_add_f64_e64 v[51:52], v[33:34], -v[45:46]
	;; [unrolled: 1-line block ×3, first 2 shown]
	s_delay_alu instid0(VALU_DEP_4) | instskip(SKIP_4) | instid1(VALU_DEP_3)
	v_cmp_gt_f64_e32 vcc_lo, 0, v[39:40]
	v_add_f64_e64 v[39:40], v[37:38], -v[41:42]
	v_add_f64_e64 v[17:18], v[33:34], -v[17:18]
	s_wait_alu 0xfffd
	v_cndmask_b32_e64 v10, 0, 0x40100000, vcc_lo
	v_add_f64_e64 v[49:50], v[37:38], -v[39:40]
	v_add_f64_e64 v[39:40], v[43:44], -v[39:40]
	;; [unrolled: 1-line block ×3, first 2 shown]
	s_delay_alu instid0(VALU_DEP_4) | instskip(NEXT) | instid1(VALU_DEP_4)
	v_add_f64_e32 v[29:30], v[29:30], v[9:10]
	v_add_f64_e64 v[43:44], v[41:42], -v[49:50]
	s_delay_alu instid0(VALU_DEP_3) | instskip(NEXT) | instid1(VALU_DEP_3)
	v_add_f64_e32 v[27:28], v[27:28], v[37:38]
	v_add_f64_e32 v[47:48], v[35:36], v[29:30]
	s_delay_alu instid0(VALU_DEP_3) | instskip(NEXT) | instid1(VALU_DEP_2)
	v_add_f64_e32 v[39:40], v[39:40], v[43:44]
	v_cvt_i32_f64_e32 v10, v[47:48]
	s_delay_alu instid0(VALU_DEP_2) | instskip(NEXT) | instid1(VALU_DEP_2)
	v_add_f64_e32 v[27:28], v[39:40], v[27:28]
	v_cvt_f64_i32_e32 v[45:46], v10
	s_delay_alu instid0(VALU_DEP_2) | instskip(NEXT) | instid1(VALU_DEP_2)
	v_add_f64_e32 v[15:16], v[15:16], v[27:28]
	v_add_f64_e64 v[29:30], v[29:30], -v[45:46]
	s_delay_alu instid0(VALU_DEP_2) | instskip(NEXT) | instid1(VALU_DEP_2)
	v_add_f64_e32 v[15:16], v[17:18], v[15:16]
	v_add_f64_e32 v[37:38], v[35:36], v[29:30]
	s_delay_alu instid0(VALU_DEP_1) | instskip(SKIP_1) | instid1(VALU_DEP_2)
	v_add_f64_e64 v[27:28], v[37:38], -v[29:30]
	v_cmp_le_f64_e32 vcc_lo, 0.5, v[37:38]
	v_add_f64_e64 v[17:18], v[35:36], -v[27:28]
	s_wait_alu 0xfffd
	v_add_co_ci_u32_e64 v31, null, 0, v10, vcc_lo
	v_cndmask_b32_e64 v10, 0, 0x3ff00000, vcc_lo
	s_delay_alu instid0(VALU_DEP_3) | instskip(NEXT) | instid1(VALU_DEP_2)
	v_add_f64_e32 v[15:16], v[15:16], v[17:18]
	v_add_f64_e64 v[17:18], v[37:38], -v[9:10]
	s_delay_alu instid0(VALU_DEP_1) | instskip(SKIP_1) | instid1(VALU_DEP_1)
	v_add_f64_e32 v[27:28], v[17:18], v[15:16]
	s_wait_alu 0xfffe
	v_mul_f64_e32 v[29:30], s[8:9], v[27:28]
	v_add_f64_e64 v[17:18], v[27:28], -v[17:18]
	s_delay_alu instid0(VALU_DEP_2) | instskip(NEXT) | instid1(VALU_DEP_2)
	v_fma_f64 v[33:34], v[27:28], s[8:9], -v[29:30]
	v_add_f64_e64 v[15:16], v[15:16], -v[17:18]
	s_delay_alu instid0(VALU_DEP_2) | instskip(NEXT) | instid1(VALU_DEP_1)
	v_fma_f64 v[17:18], v[27:28], s[12:13], v[33:34]
	v_fma_f64 v[17:18], v[15:16], s[8:9], v[17:18]
	s_delay_alu instid0(VALU_DEP_1) | instskip(NEXT) | instid1(VALU_DEP_1)
	v_add_f64_e32 v[15:16], v[29:30], v[17:18]
	v_add_f64_e64 v[27:28], v[15:16], -v[29:30]
	s_delay_alu instid0(VALU_DEP_1)
	v_add_f64_e64 v[17:18], v[17:18], -v[27:28]
	s_and_not1_saveexec_b32 s1, s1
	s_cbranch_execz .LBB0_6
	s_branch .LBB0_5
.LBB0_4:                                ;   in Loop: Header=BB0_2 Depth=1
	s_wait_alu 0xfffe
	s_and_not1_saveexec_b32 s1, s1
	s_cbranch_execz .LBB0_6
.LBB0_5:                                ;   in Loop: Header=BB0_2 Depth=1
	v_mul_f64_e64 v[15:16], |v[13:14]|, s[14:15]
	s_mov_b32 s10, s16
	s_delay_alu instid0(VALU_DEP_1) | instskip(NEXT) | instid1(VALU_DEP_1)
	v_rndne_f64_e32 v[27:28], v[15:16]
	v_fma_f64 v[15:16], v[27:28], s[6:7], |v[13:14]|
	v_mul_f64_e32 v[17:18], s[16:17], v[27:28]
	v_cvt_i32_f64_e32 v31, v[27:28]
	s_delay_alu instid0(VALU_DEP_3) | instskip(NEXT) | instid1(VALU_DEP_3)
	v_fma_f64 v[33:34], v[27:28], s[16:17], v[15:16]
	v_add_f64_e32 v[29:30], v[15:16], v[17:18]
	s_delay_alu instid0(VALU_DEP_1) | instskip(NEXT) | instid1(VALU_DEP_3)
	v_add_f64_e64 v[15:16], v[15:16], -v[29:30]
	v_add_f64_e64 v[29:30], v[29:30], -v[33:34]
	s_delay_alu instid0(VALU_DEP_2) | instskip(SKIP_2) | instid1(VALU_DEP_2)
	v_add_f64_e32 v[15:16], v[15:16], v[17:18]
	s_wait_alu 0xfffe
	v_fma_f64 v[17:18], v[27:28], s[10:11], v[17:18]
	v_add_f64_e32 v[15:16], v[29:30], v[15:16]
	s_delay_alu instid0(VALU_DEP_1) | instskip(NEXT) | instid1(VALU_DEP_1)
	v_add_f64_e64 v[15:16], v[15:16], -v[17:18]
	v_fma_f64 v[17:18], v[27:28], s[18:19], v[15:16]
	s_delay_alu instid0(VALU_DEP_1) | instskip(NEXT) | instid1(VALU_DEP_1)
	v_add_f64_e32 v[15:16], v[33:34], v[17:18]
	v_add_f64_e64 v[29:30], v[15:16], -v[33:34]
	s_delay_alu instid0(VALU_DEP_1)
	v_add_f64_e64 v[17:18], v[17:18], -v[29:30]
.LBB0_6:                                ;   in Loop: Header=BB0_2 Depth=1
	s_wait_alu 0xfffe
	s_or_b32 exec_lo, exec_lo, s1
                                        ; implicit-def: $vgpr33
                                        ; implicit-def: $vgpr27_vgpr28
                                        ; implicit-def: $vgpr29_vgpr30
	s_and_saveexec_b32 s1, s0
	s_wait_alu 0xfffe
	s_xor_b32 s0, exec_lo, s1
	s_cbranch_execz .LBB0_8
; %bb.7:                                ;   in Loop: Header=BB0_2 Depth=1
	v_cmp_le_f64_e64 vcc_lo, 0x7b000000, |v[13:14]|
	s_mov_b32 s8, s6
	s_mov_b32 s13, s11
	s_wait_alu 0xfffd
	v_dual_cndmask_b32 v26, v32, v26 :: v_dual_cndmask_b32 v25, v13, v25
	s_delay_alu instid0(VALU_DEP_1) | instskip(SKIP_2) | instid1(VALU_DEP_3)
	v_mul_f64_e32 v[27:28], v[23:24], v[25:26]
	v_mul_f64_e32 v[29:30], v[21:22], v[25:26]
	;; [unrolled: 1-line block ×3, first 2 shown]
	v_fma_f64 v[23:24], v[23:24], v[25:26], -v[27:28]
	s_delay_alu instid0(VALU_DEP_3) | instskip(NEXT) | instid1(VALU_DEP_3)
	v_fma_f64 v[21:22], v[21:22], v[25:26], -v[29:30]
	v_fma_f64 v[19:20], v[19:20], v[25:26], -v[40:41]
	s_delay_alu instid0(VALU_DEP_3) | instskip(NEXT) | instid1(VALU_DEP_1)
	v_add_f64_e32 v[32:33], v[29:30], v[23:24]
	v_add_f64_e64 v[34:35], v[32:33], -v[29:30]
	v_add_f64_e32 v[38:39], v[27:28], v[32:33]
	s_delay_alu instid0(VALU_DEP_2) | instskip(SKIP_1) | instid1(VALU_DEP_3)
	v_add_f64_e64 v[36:37], v[32:33], -v[34:35]
	v_add_f64_e64 v[23:24], v[23:24], -v[34:35]
	v_ldexp_f64 v[34:35], v[38:39], -2
	v_add_f64_e64 v[27:28], v[38:39], -v[27:28]
	s_delay_alu instid0(VALU_DEP_4) | instskip(SKIP_1) | instid1(VALU_DEP_4)
	v_add_f64_e64 v[29:30], v[29:30], -v[36:37]
	v_add_f64_e32 v[36:37], v[40:41], v[21:22]
	v_cmp_neq_f64_e64 vcc_lo, 0x7ff00000, |v[34:35]|
	s_delay_alu instid0(VALU_DEP_4) | instskip(NEXT) | instid1(VALU_DEP_4)
	v_add_f64_e64 v[27:28], v[32:33], -v[27:28]
	v_add_f64_e32 v[23:24], v[23:24], v[29:30]
	v_fract_f64_e32 v[29:30], v[34:35]
	s_delay_alu instid0(VALU_DEP_2) | instskip(NEXT) | instid1(VALU_DEP_2)
	v_add_f64_e32 v[32:33], v[36:37], v[23:24]
	v_ldexp_f64 v[29:30], v[29:30], 2
	s_delay_alu instid0(VALU_DEP_2) | instskip(SKIP_1) | instid1(VALU_DEP_2)
	v_add_f64_e32 v[34:35], v[27:28], v[32:33]
	s_wait_alu 0xfffd
	v_dual_cndmask_b32 v30, 0, v30 :: v_dual_cndmask_b32 v29, 0, v29
	v_add_f64_e64 v[42:43], v[32:33], -v[36:37]
	s_delay_alu instid0(VALU_DEP_2) | instskip(SKIP_1) | instid1(VALU_DEP_3)
	v_add_f64_e32 v[38:39], v[34:35], v[29:30]
	v_add_f64_e64 v[25:26], v[34:35], -v[27:28]
	v_add_f64_e64 v[48:49], v[32:33], -v[42:43]
	;; [unrolled: 1-line block ×3, first 2 shown]
	s_delay_alu instid0(VALU_DEP_4) | instskip(SKIP_4) | instid1(VALU_DEP_3)
	v_cmp_gt_f64_e32 vcc_lo, 0, v[38:39]
	v_add_f64_e64 v[38:39], v[36:37], -v[40:41]
	v_add_f64_e64 v[25:26], v[32:33], -v[25:26]
	s_wait_alu 0xfffd
	v_cndmask_b32_e64 v10, 0, 0x40100000, vcc_lo
	v_add_f64_e64 v[46:47], v[36:37], -v[38:39]
	v_add_f64_e64 v[21:22], v[21:22], -v[38:39]
	;; [unrolled: 1-line block ×3, first 2 shown]
	s_delay_alu instid0(VALU_DEP_4) | instskip(NEXT) | instid1(VALU_DEP_4)
	v_add_f64_e32 v[29:30], v[29:30], v[9:10]
	v_add_f64_e64 v[38:39], v[40:41], -v[46:47]
	s_delay_alu instid0(VALU_DEP_3) | instskip(NEXT) | instid1(VALU_DEP_3)
	v_add_f64_e32 v[23:24], v[23:24], v[36:37]
	v_add_f64_e32 v[44:45], v[34:35], v[29:30]
	s_delay_alu instid0(VALU_DEP_3) | instskip(NEXT) | instid1(VALU_DEP_2)
	v_add_f64_e32 v[21:22], v[21:22], v[38:39]
	v_cvt_i32_f64_e32 v10, v[44:45]
	s_delay_alu instid0(VALU_DEP_2) | instskip(NEXT) | instid1(VALU_DEP_2)
	v_add_f64_e32 v[21:22], v[21:22], v[23:24]
	v_cvt_f64_i32_e32 v[42:43], v10
	s_delay_alu instid0(VALU_DEP_2) | instskip(NEXT) | instid1(VALU_DEP_2)
	v_add_f64_e32 v[19:20], v[19:20], v[21:22]
	v_add_f64_e64 v[29:30], v[29:30], -v[42:43]
	s_delay_alu instid0(VALU_DEP_2) | instskip(NEXT) | instid1(VALU_DEP_2)
	v_add_f64_e32 v[19:20], v[25:26], v[19:20]
	v_add_f64_e32 v[23:24], v[34:35], v[29:30]
	s_delay_alu instid0(VALU_DEP_1) | instskip(SKIP_1) | instid1(VALU_DEP_2)
	v_add_f64_e64 v[21:22], v[23:24], -v[29:30]
	v_cmp_le_f64_e32 vcc_lo, 0.5, v[23:24]
	v_add_f64_e64 v[21:22], v[34:35], -v[21:22]
	s_wait_alu 0xfffd
	v_add_co_ci_u32_e64 v33, null, 0, v10, vcc_lo
	v_cndmask_b32_e64 v10, 0, 0x3ff00000, vcc_lo
	s_delay_alu instid0(VALU_DEP_3) | instskip(NEXT) | instid1(VALU_DEP_2)
	v_add_f64_e32 v[19:20], v[19:20], v[21:22]
	v_add_f64_e64 v[21:22], v[23:24], -v[9:10]
	s_delay_alu instid0(VALU_DEP_1) | instskip(SKIP_1) | instid1(VALU_DEP_1)
	v_add_f64_e32 v[23:24], v[21:22], v[19:20]
	s_wait_alu 0xfffe
	v_mul_f64_e32 v[25:26], s[8:9], v[23:24]
	v_add_f64_e64 v[21:22], v[23:24], -v[21:22]
	s_delay_alu instid0(VALU_DEP_2) | instskip(NEXT) | instid1(VALU_DEP_2)
	v_fma_f64 v[27:28], v[23:24], s[8:9], -v[25:26]
	v_add_f64_e64 v[19:20], v[19:20], -v[21:22]
	s_delay_alu instid0(VALU_DEP_2) | instskip(NEXT) | instid1(VALU_DEP_1)
	v_fma_f64 v[21:22], v[23:24], s[12:13], v[27:28]
	v_fma_f64 v[19:20], v[19:20], s[8:9], v[21:22]
	s_delay_alu instid0(VALU_DEP_1) | instskip(NEXT) | instid1(VALU_DEP_1)
	v_add_f64_e32 v[27:28], v[25:26], v[19:20]
	v_add_f64_e64 v[21:22], v[27:28], -v[25:26]
	s_delay_alu instid0(VALU_DEP_1)
	v_add_f64_e64 v[29:30], v[19:20], -v[21:22]
	s_and_not1_saveexec_b32 s0, s0
	s_cbranch_execz .LBB0_1
	s_branch .LBB0_9
.LBB0_8:                                ;   in Loop: Header=BB0_2 Depth=1
	s_wait_alu 0xfffe
	s_and_not1_saveexec_b32 s0, s0
	s_cbranch_execz .LBB0_1
.LBB0_9:                                ;   in Loop: Header=BB0_2 Depth=1
	v_mul_f64_e64 v[19:20], |v[13:14]|, s[14:15]
	s_mov_b32 s10, s16
	s_delay_alu instid0(VALU_DEP_1) | instskip(NEXT) | instid1(VALU_DEP_1)
	v_rndne_f64_e32 v[19:20], v[19:20]
	v_fma_f64 v[21:22], v[19:20], s[6:7], |v[13:14]|
	v_mul_f64_e32 v[23:24], s[16:17], v[19:20]
	v_cvt_i32_f64_e32 v33, v[19:20]
	s_delay_alu instid0(VALU_DEP_3) | instskip(NEXT) | instid1(VALU_DEP_3)
	v_fma_f64 v[29:30], v[19:20], s[16:17], v[21:22]
	v_add_f64_e32 v[25:26], v[21:22], v[23:24]
	s_delay_alu instid0(VALU_DEP_1) | instskip(NEXT) | instid1(VALU_DEP_3)
	v_add_f64_e64 v[21:22], v[21:22], -v[25:26]
	v_add_f64_e64 v[25:26], v[25:26], -v[29:30]
	s_delay_alu instid0(VALU_DEP_2) | instskip(SKIP_2) | instid1(VALU_DEP_2)
	v_add_f64_e32 v[21:22], v[21:22], v[23:24]
	s_wait_alu 0xfffe
	v_fma_f64 v[23:24], v[19:20], s[10:11], v[23:24]
	v_add_f64_e32 v[21:22], v[25:26], v[21:22]
	s_delay_alu instid0(VALU_DEP_1) | instskip(NEXT) | instid1(VALU_DEP_1)
	v_add_f64_e64 v[21:22], v[21:22], -v[23:24]
	v_fma_f64 v[21:22], v[19:20], s[18:19], v[21:22]
	s_delay_alu instid0(VALU_DEP_1) | instskip(NEXT) | instid1(VALU_DEP_1)
	v_add_f64_e32 v[27:28], v[29:30], v[21:22]
	v_add_f64_e64 v[23:24], v[27:28], -v[29:30]
	s_delay_alu instid0(VALU_DEP_1)
	v_add_f64_e64 v[29:30], v[21:22], -v[23:24]
	s_branch .LBB0_1
.LBB0_10:
	s_clause 0x6
	scratch_load_b64 v[3:4], off, off offset:64
	scratch_load_b64 v[9:10], off, off offset:32
	;; [unrolled: 1-line block ×7, first 2 shown]
	v_and_b32_e32 v31, 7, v0
	v_and_b32_e32 v5, 0x3f8, v0
	v_lshlrev_b32_e32 v6, 3, v0
	s_mov_b32 s0, 0x667f3bcd
	s_mov_b32 s1, 0x3fe6a09e
	;; [unrolled: 1-line block ×3, first 2 shown]
	v_mad_u32_u24 v5, 0x210, v31, v5
	v_add_nc_u32_e32 v21, 0x800, v6
	s_mov_b32 s6, 0x54442d18
	s_mov_b32 s14, 0x6dc9c883
	;; [unrolled: 1-line block ×36, first 2 shown]
	s_wait_alu 0xfffe
	s_mov_b32 s30, s34
	s_getpc_b64 s[2:3]
	s_sext_i32_i16 s3, s3
	s_add_co_u32 s2, s2, __const._Z9fft1D_512P15HIP_vector_typeIdLj2EE.reversed@rel32@lo+12
	s_add_co_ci_u32 s3, s3, __const._Z9fft1D_512P15HIP_vector_typeIdLj2EE.reversed@rel32@hi+20
	s_wait_loadcnt 0x6
	ds_store_2addr_b64 v6, v[1:2], v[3:4] offset1:66
	s_wait_loadcnt 0x2
	ds_store_2addr_b64 v6, v[9:10], v[15:16] offset0:132 offset1:198
	s_wait_loadcnt 0x0
	ds_store_2addr_b64 v21, v[13:14], v[19:20] offset0:8 offset1:74
	ds_store_2addr_b64 v21, v[11:12], v[17:18] offset0:140 offset1:206
	s_wait_storecnt_dscnt 0x0
	s_barrier_signal -1
	s_barrier_wait -1
	global_inv scope:SCOPE_SE
	ds_load_2addr_b64 v[1:4], v5 offset1:8
	ds_load_2addr_b64 v[9:12], v5 offset0:16 offset1:24
	ds_load_2addr_b64 v[13:16], v5 offset0:32 offset1:40
	;; [unrolled: 1-line block ×3, first 2 shown]
	s_wait_dscnt 0x3
	s_clause 0x1
	scratch_store_b64 off, v[1:2], off
	scratch_store_b64 off, v[3:4], off offset:16
	s_wait_dscnt 0x2
	s_clause 0x1
	scratch_store_b64 off, v[9:10], off offset:32
	scratch_store_b64 off, v[11:12], off offset:48
	s_wait_dscnt 0x1
	s_clause 0x1
	scratch_store_b64 off, v[13:14], off offset:64
	;; [unrolled: 4-line block ×3, first 2 shown]
	scratch_store_b64 off, v[19:20], off offset:112
	s_wait_loadcnt 0x0
	s_wait_storecnt 0x0
	s_barrier_signal -1
	s_barrier_wait -1
	global_inv scope:SCOPE_SE
	s_clause 0x7
	scratch_load_b64 v[1:2], off, off offset:8
	scratch_load_b64 v[3:4], off, off offset:40
	;; [unrolled: 1-line block ×8, first 2 shown]
	s_wait_loadcnt 0x3
	ds_store_2addr_b64 v6, v[1:2], v[13:14] offset1:66
	s_wait_loadcnt 0x2
	ds_store_2addr_b64 v6, v[3:4], v[15:16] offset0:132 offset1:198
	s_wait_loadcnt 0x0
	ds_store_2addr_b64 v21, v[11:12], v[19:20] offset0:8 offset1:74
	ds_store_2addr_b64 v21, v[9:10], v[17:18] offset0:140 offset1:206
	s_wait_dscnt 0x0
	s_barrier_signal -1
	s_barrier_wait -1
	global_inv scope:SCOPE_SE
	ds_load_2addr_b64 v[1:4], v5 offset1:8
	ds_load_2addr_b64 v[9:12], v5 offset0:16 offset1:24
	ds_load_2addr_b64 v[13:16], v5 offset0:32 offset1:40
	ds_load_2addr_b64 v[17:20], v5 offset0:48 offset1:56
	s_wait_dscnt 0x3
	s_clause 0x1
	scratch_store_b64 off, v[1:2], off offset:8
	scratch_store_b64 off, v[3:4], off offset:24
	s_wait_dscnt 0x2
	s_clause 0x1
	scratch_store_b64 off, v[9:10], off offset:40
	scratch_store_b64 off, v[11:12], off offset:56
	;; [unrolled: 4-line block ×4, first 2 shown]
	s_wait_loadcnt 0x0
	s_wait_storecnt 0x0
	s_barrier_signal -1
	s_barrier_wait -1
	global_inv scope:SCOPE_SE
	s_clause 0x7
	scratch_load_b128 v[1:4], off, off offset:48
	scratch_load_b128 v[9:12], off, off offset:112
	;; [unrolled: 1-line block ×6, first 2 shown]
	scratch_load_b128 v[32:35], off, off
	scratch_load_b128 v[36:39], off, off offset:64
	s_wait_loadcnt 0x6
	v_add_f64_e64 v[29:30], v[1:2], -v[9:10]
	v_add_f64_e64 v[40:41], v[3:4], -v[11:12]
	s_wait_loadcnt 0x4
	v_add_f64_e64 v[42:43], v[13:14], -v[17:18]
	v_add_f64_e64 v[44:45], v[15:16], -v[19:20]
	v_add_f64_e32 v[13:14], v[13:14], v[17:18]
	v_add_f64_e32 v[15:16], v[15:16], v[19:20]
	;; [unrolled: 1-line block ×4, first 2 shown]
	s_wait_loadcnt 0x2
	v_add_f64_e64 v[9:10], v[21:22], -v[25:26]
	v_add_f64_e64 v[11:12], v[23:24], -v[27:28]
	v_add_f64_e32 v[21:22], v[21:22], v[25:26]
	v_add_f64_e32 v[23:24], v[23:24], v[27:28]
	s_wait_loadcnt 0x0
	v_add_f64_e64 v[25:26], v[32:33], -v[36:37]
	v_add_f64_e64 v[46:47], v[40:41], -v[29:30]
	v_add_f64_e64 v[29:30], -v[40:41], -v[29:30]
	v_add_f64_e32 v[17:18], v[42:43], v[44:45]
	v_add_f64_e64 v[19:20], v[44:45], -v[42:43]
	v_add_f64_e32 v[42:43], v[32:33], v[36:37]
	v_add_f64_e32 v[44:45], v[34:35], v[38:39]
	v_add_f64_e64 v[27:28], v[13:14], -v[1:2]
	v_add_f64_e64 v[32:33], v[15:16], -v[3:4]
	;; [unrolled: 1-line block ×3, first 2 shown]
	v_fma_f64 v[36:37], v[9:10], 0, v[11:12]
	v_fma_f64 v[9:10], v[11:12], 0, -v[9:10]
	v_add_f64_e32 v[13:14], v[13:14], v[1:2]
	v_add_f64_e32 v[4:5], v[15:16], v[3:4]
	v_mul_f64_e32 v[40:41], s[0:1], v[46:47]
	v_mul_f64_e32 v[29:30], s[0:1], v[29:30]
	v_add_f64_e32 v[46:47], v[42:43], v[21:22]
	v_add_f64_e32 v[48:49], v[44:45], v[23:24]
	v_add_f64_e64 v[21:22], v[42:43], -v[21:22]
	v_add_f64_e64 v[23:24], v[44:45], -v[23:24]
	v_fma_f64 v[42:43], v[27:28], 0, v[32:33]
	v_add_f64_e32 v[44:45], v[25:26], v[36:37]
	v_add_f64_e32 v[50:51], v[34:35], v[9:10]
	v_add_f64_e64 v[54:55], v[34:35], -v[9:10]
	v_fma_f64 v[27:28], v[32:33], 0, -v[27:28]
	v_add_f64_e64 v[52:53], v[25:26], -v[36:37]
	v_lshrrev_b32_e32 v32, 3, v0
	v_mov_b32_e32 v9, 0
	v_fma_f64 v[11:12], v[17:18], s[0:1], -v[40:41]
	v_fma_f64 v[38:39], v[19:20], s[0:1], -v[29:30]
	v_fma_f64 v[40:41], v[17:18], s[0:1], v[40:41]
	v_fma_f64 v[29:30], v[19:20], s[0:1], v[29:30]
	v_add_f64_e32 v[0:1], v[46:47], v[13:14]
	v_add_f64_e32 v[2:3], v[48:49], v[4:5]
	v_add_f64_e64 v[13:14], v[46:47], -v[13:14]
	v_add_f64_e64 v[15:16], v[48:49], -v[4:5]
	v_add_f64_e32 v[17:18], v[21:22], v[42:43]
	v_add_f64_e64 v[21:22], v[21:22], -v[42:43]
	v_add_f64_e32 v[19:20], v[23:24], v[27:28]
	v_add_f64_e64 v[23:24], v[23:24], -v[27:28]
	v_fma_f64 v[56:57], v[11:12], 0, v[38:39]
	v_fma_f64 v[10:11], v[38:39], 0, -v[11:12]
	v_add_f64_e32 v[25:26], v[44:45], v[40:41]
	v_add_f64_e64 v[33:34], v[44:45], -v[40:41]
	v_add_f64_e32 v[27:28], v[50:51], v[29:30]
	v_add_f64_e64 v[35:36], v[50:51], -v[29:30]
	v_add_f64_e32 v[37:38], v[52:53], v[56:57]
	v_add_f64_e32 v[39:40], v[54:55], v[10:11]
	v_add_f64_e64 v[43:44], v[54:55], -v[10:11]
	v_cvt_f64_u32_e32 v[11:12], v32
	v_add_f64_e64 v[41:42], v[52:53], -v[56:57]
	s_clause 0x7
	scratch_store_b128 off, v[0:3], off
	scratch_store_b128 off, v[13:16], off offset:16
	scratch_store_b128 off, v[17:20], off offset:32
	;; [unrolled: 1-line block ×7, first 2 shown]
	s_branch .LBB0_12
.LBB0_11:                               ;   in Loop: Header=BB0_12 Depth=1
	s_wait_alu 0xfffe
	s_or_b32 exec_lo, exec_lo, s0
	v_mul_f64_e32 v[19:20], v[15:16], v[15:16]
	v_mul_f64_e32 v[21:22], v[27:28], v[27:28]
	s_delay_alu instid0(VALU_DEP_3) | instskip(NEXT) | instid1(VALU_DEP_4)
	v_mul_f64_e32 v[48:49], 0.5, v[17:18]
	v_mul_f64_e32 v[54:55], 0.5, v[29:30]
	v_cmp_class_f64_e64 s0, v[13:14], 0x1f8
	v_and_b32_e32 v10, 1, v33
	s_add_co_i32 s52, s52, 16
	s_add_nc_u64 s[2:3], s[2:3], 4
	s_cmp_eq_u32 s52, 0x70
	s_delay_alu instid0(VALU_DEP_1)
	v_cmp_eq_u32_e32 vcc_lo, 0, v10
	v_fma_f64 v[23:24], v[19:20], s[38:39], s[36:37]
	v_fma_f64 v[25:26], v[21:22], s[38:39], s[36:37]
	;; [unrolled: 1-line block ×3, first 2 shown]
	v_mul_f64_e32 v[38:39], 0.5, v[19:20]
	v_fma_f64 v[40:41], v[21:22], s[22:23], s[20:21]
	v_mul_f64_e32 v[42:43], 0.5, v[21:22]
	v_mul_f64_e64 v[50:51], v[15:16], -v[19:20]
	v_mul_f64_e64 v[56:57], v[27:28], -v[21:22]
	v_fma_f64 v[23:24], v[19:20], v[23:24], s[40:41]
	v_fma_f64 v[25:26], v[21:22], v[25:26], s[40:41]
	v_fma_f64 v[36:37], v[19:20], v[36:37], s[24:25]
	v_add_f64_e64 v[44:45], -v[38:39], 1.0
	v_fma_f64 v[40:41], v[21:22], v[40:41], s[24:25]
	v_add_f64_e64 v[46:47], -v[42:43], 1.0
	v_fma_f64 v[23:24], v[19:20], v[23:24], s[42:43]
	v_fma_f64 v[25:26], v[21:22], v[25:26], s[42:43]
	;; [unrolled: 1-line block ×3, first 2 shown]
	v_add_f64_e64 v[52:53], -v[44:45], 1.0
	v_fma_f64 v[40:41], v[21:22], v[40:41], s[26:27]
	v_add_f64_e64 v[58:59], -v[46:47], 1.0
	v_fma_f64 v[23:24], v[19:20], v[23:24], s[44:45]
	v_fma_f64 v[25:26], v[21:22], v[25:26], s[44:45]
	;; [unrolled: 1-line block ×3, first 2 shown]
	v_add_f64_e64 v[38:39], v[52:53], -v[38:39]
	v_fma_f64 v[40:41], v[21:22], v[40:41], s[28:29]
	v_add_f64_e64 v[42:43], v[58:59], -v[42:43]
	v_fma_f64 v[23:24], v[50:51], v[23:24], v[48:49]
	v_fma_f64 v[25:26], v[56:57], v[25:26], v[54:55]
	v_mul_f64_e32 v[48:49], v[19:20], v[19:20]
	v_fma_f64 v[36:37], v[19:20], v[36:37], s[30:31]
	v_fma_f64 v[38:39], v[15:16], -v[17:18], v[38:39]
	v_fma_f64 v[17:18], v[19:20], v[23:24], -v[17:18]
	v_mul_f64_e32 v[19:20], v[21:22], v[21:22]
	v_fma_f64 v[23:24], v[21:22], v[40:41], s[30:31]
	v_fma_f64 v[40:41], v[27:28], -v[29:30], v[42:43]
	v_fma_f64 v[21:22], v[21:22], v[25:26], -v[29:30]
	v_fma_f64 v[25:26], v[48:49], v[36:37], v[38:39]
	v_fma_f64 v[17:18], v[50:51], s[34:35], v[17:18]
	s_delay_alu instid0(VALU_DEP_4) | instskip(NEXT) | instid1(VALU_DEP_4)
	v_fma_f64 v[19:20], v[19:20], v[23:24], v[40:41]
	v_fma_f64 v[21:22], v[56:57], s[34:35], v[21:22]
	s_delay_alu instid0(VALU_DEP_4) | instskip(SKIP_1) | instid1(VALU_DEP_1)
	v_add_f64_e32 v[23:24], v[44:45], v[25:26]
	v_lshlrev_b32_e32 v13, 30, v35
	v_xor_b32_e32 v13, v13, v14
	s_delay_alu instid0(VALU_DEP_1) | instskip(SKIP_4) | instid1(VALU_DEP_3)
	v_and_b32_e32 v13, 0x80000000, v13
	v_add_f64_e64 v[15:16], v[15:16], -v[17:18]
	v_add_f64_e32 v[17:18], v[46:47], v[19:20]
	v_add_f64_e64 v[19:20], v[27:28], -v[21:22]
	s_wait_alu 0xfffd
	v_cndmask_b32_e32 v10, v15, v23, vcc_lo
	v_and_b32_e32 v15, 1, v35
	s_delay_alu instid0(VALU_DEP_1) | instskip(SKIP_1) | instid1(VALU_DEP_1)
	v_cmp_eq_u32_e64 s1, 0, v15
	s_wait_alu 0xf1ff
	v_cndmask_b32_e64 v15, v18, v20, s1
	v_cndmask_b32_e64 v14, v17, v19, s1
	s_delay_alu instid0(VALU_DEP_2) | instskip(NEXT) | instid1(VALU_DEP_2)
	v_xor_b32_e32 v15, v15, v13
	v_cndmask_b32_e64 v14, 0, v14, s0
	v_cndmask_b32_e64 v13, 0, v10, s0
	v_lshlrev_b32_e32 v10, 30, v33
	s_delay_alu instid0(VALU_DEP_4) | instskip(NEXT) | instid1(VALU_DEP_2)
	v_cndmask_b32_e64 v15, 0x7ff80000, v15, s0
	v_and_b32_e32 v10, 0x80000000, v10
	s_wait_loadcnt 0x0
	s_delay_alu instid0(VALU_DEP_2) | instskip(SKIP_2) | instid1(VALU_DEP_1)
	v_mul_f64_e32 v[17:18], v[4:5], v[14:15]
	v_mul_f64_e32 v[19:20], v[2:3], v[14:15]
	v_xor_b32_e32 v14, 0x80000000, v16
	v_cndmask_b32_e32 v14, v14, v24, vcc_lo
	s_delay_alu instid0(VALU_DEP_1) | instskip(NEXT) | instid1(VALU_DEP_1)
	v_xor_b32_e32 v10, v14, v10
	v_cndmask_b32_e64 v14, 0x7ff80000, v10, s0
	s_delay_alu instid0(VALU_DEP_1)
	v_fma_f64 v[2:3], v[2:3], v[13:14], -v[17:18]
	v_fma_f64 v[4:5], v[4:5], v[13:14], v[19:20]
	scratch_store_b128 off, v[2:5], s53 offset:16
	s_cbranch_scc1 .LBB0_20
.LBB0_12:                               ; =>This Inner Loop Header: Depth=1
	scratch_load_b128 v[2:5], off, s52 offset:16
	s_load_b32 s0, s[2:3], 0x0
	s_mov_b32 s53, s52
                                        ; implicit-def: $vgpr33
                                        ; implicit-def: $vgpr15_vgpr16
                                        ; implicit-def: $vgpr17_vgpr18
	s_wait_kmcnt 0x0
	v_cvt_f64_i32_e32 v[13:14], s0
	s_delay_alu instid0(VALU_DEP_1) | instskip(NEXT) | instid1(VALU_DEP_1)
	v_mul_f64_e32 v[13:14], s[4:5], v[13:14]
	v_ldexp_f64 v[13:14], v[13:14], -6
	s_delay_alu instid0(VALU_DEP_1) | instskip(NEXT) | instid1(VALU_DEP_1)
	v_mul_f64_e32 v[13:14], v[13:14], v[11:12]
	v_cmp_ngt_f64_e64 s0, 0x41d00000, |v[13:14]|
	v_trig_preop_f64 v[23:24], |v[13:14]|, 0
	v_trig_preop_f64 v[21:22], |v[13:14]|, 1
	v_ldexp_f64 v[25:26], |v[13:14]|, 0xffffff80
	v_trig_preop_f64 v[19:20], |v[13:14]|, 2
	v_and_b32_e32 v34, 0x7fffffff, v14
	s_and_saveexec_b32 s1, s0
	s_wait_alu 0xfffe
	s_xor_b32 s1, exec_lo, s1
	s_cbranch_execz .LBB0_14
; %bb.13:                               ;   in Loop: Header=BB0_12 Depth=1
	v_cmp_le_f64_e64 vcc_lo, 0x7b000000, |v[13:14]|
	s_mov_b32 s8, s6
	s_mov_b32 s13, s11
	s_wait_alu 0xfffd
	v_dual_cndmask_b32 v16, v34, v26 :: v_dual_cndmask_b32 v15, v13, v25
	s_delay_alu instid0(VALU_DEP_1) | instskip(SKIP_2) | instid1(VALU_DEP_3)
	v_mul_f64_e32 v[17:18], v[23:24], v[15:16]
	v_mul_f64_e32 v[27:28], v[21:22], v[15:16]
	;; [unrolled: 1-line block ×3, first 2 shown]
	v_fma_f64 v[29:30], v[23:24], v[15:16], -v[17:18]
	s_delay_alu instid0(VALU_DEP_3) | instskip(NEXT) | instid1(VALU_DEP_3)
	v_fma_f64 v[45:46], v[21:22], v[15:16], -v[27:28]
	v_fma_f64 v[15:16], v[19:20], v[15:16], -v[43:44]
	s_delay_alu instid0(VALU_DEP_3) | instskip(NEXT) | instid1(VALU_DEP_1)
	v_add_f64_e32 v[35:36], v[27:28], v[29:30]
	v_add_f64_e64 v[37:38], v[35:36], -v[27:28]
	v_add_f64_e32 v[41:42], v[17:18], v[35:36]
	s_delay_alu instid0(VALU_DEP_2) | instskip(SKIP_1) | instid1(VALU_DEP_3)
	v_add_f64_e64 v[39:40], v[35:36], -v[37:38]
	v_add_f64_e64 v[29:30], v[29:30], -v[37:38]
	v_ldexp_f64 v[37:38], v[41:42], -2
	v_add_f64_e64 v[17:18], v[41:42], -v[17:18]
	s_delay_alu instid0(VALU_DEP_4) | instskip(SKIP_1) | instid1(VALU_DEP_4)
	v_add_f64_e64 v[27:28], v[27:28], -v[39:40]
	v_add_f64_e32 v[39:40], v[43:44], v[45:46]
	v_cmp_neq_f64_e64 vcc_lo, 0x7ff00000, |v[37:38]|
	s_delay_alu instid0(VALU_DEP_4) | instskip(NEXT) | instid1(VALU_DEP_4)
	v_add_f64_e64 v[17:18], v[35:36], -v[17:18]
	v_add_f64_e32 v[27:28], v[29:30], v[27:28]
	v_fract_f64_e32 v[29:30], v[37:38]
	s_delay_alu instid0(VALU_DEP_2) | instskip(NEXT) | instid1(VALU_DEP_2)
	v_add_f64_e32 v[35:36], v[39:40], v[27:28]
	v_ldexp_f64 v[29:30], v[29:30], 2
	s_delay_alu instid0(VALU_DEP_2) | instskip(SKIP_1) | instid1(VALU_DEP_2)
	v_add_f64_e32 v[37:38], v[17:18], v[35:36]
	s_wait_alu 0xfffd
	v_dual_cndmask_b32 v30, 0, v30 :: v_dual_cndmask_b32 v29, 0, v29
	v_add_f64_e64 v[47:48], v[35:36], -v[39:40]
	s_delay_alu instid0(VALU_DEP_2) | instskip(SKIP_1) | instid1(VALU_DEP_3)
	v_add_f64_e32 v[41:42], v[37:38], v[29:30]
	v_add_f64_e64 v[17:18], v[37:38], -v[17:18]
	v_add_f64_e64 v[53:54], v[35:36], -v[47:48]
	;; [unrolled: 1-line block ×3, first 2 shown]
	s_delay_alu instid0(VALU_DEP_4) | instskip(SKIP_4) | instid1(VALU_DEP_3)
	v_cmp_gt_f64_e32 vcc_lo, 0, v[41:42]
	v_add_f64_e64 v[41:42], v[39:40], -v[43:44]
	v_add_f64_e64 v[17:18], v[35:36], -v[17:18]
	s_wait_alu 0xfffd
	v_cndmask_b32_e64 v10, 0, 0x40100000, vcc_lo
	v_add_f64_e64 v[51:52], v[39:40], -v[41:42]
	v_add_f64_e64 v[41:42], v[45:46], -v[41:42]
	;; [unrolled: 1-line block ×3, first 2 shown]
	s_delay_alu instid0(VALU_DEP_4) | instskip(NEXT) | instid1(VALU_DEP_4)
	v_add_f64_e32 v[29:30], v[29:30], v[9:10]
	v_add_f64_e64 v[45:46], v[43:44], -v[51:52]
	s_delay_alu instid0(VALU_DEP_3) | instskip(NEXT) | instid1(VALU_DEP_3)
	v_add_f64_e32 v[27:28], v[27:28], v[39:40]
	v_add_f64_e32 v[49:50], v[37:38], v[29:30]
	s_delay_alu instid0(VALU_DEP_3) | instskip(NEXT) | instid1(VALU_DEP_2)
	v_add_f64_e32 v[41:42], v[41:42], v[45:46]
	v_cvt_i32_f64_e32 v10, v[49:50]
	s_delay_alu instid0(VALU_DEP_2) | instskip(NEXT) | instid1(VALU_DEP_2)
	v_add_f64_e32 v[27:28], v[41:42], v[27:28]
	v_cvt_f64_i32_e32 v[47:48], v10
	s_delay_alu instid0(VALU_DEP_2) | instskip(NEXT) | instid1(VALU_DEP_2)
	v_add_f64_e32 v[15:16], v[15:16], v[27:28]
	v_add_f64_e64 v[29:30], v[29:30], -v[47:48]
	s_delay_alu instid0(VALU_DEP_2) | instskip(NEXT) | instid1(VALU_DEP_2)
	v_add_f64_e32 v[15:16], v[17:18], v[15:16]
	v_add_f64_e32 v[39:40], v[37:38], v[29:30]
	s_delay_alu instid0(VALU_DEP_1) | instskip(SKIP_1) | instid1(VALU_DEP_2)
	v_add_f64_e64 v[27:28], v[39:40], -v[29:30]
	v_cmp_le_f64_e32 vcc_lo, 0.5, v[39:40]
	v_add_f64_e64 v[17:18], v[37:38], -v[27:28]
	s_wait_alu 0xfffd
	v_add_co_ci_u32_e64 v33, null, 0, v10, vcc_lo
	v_cndmask_b32_e64 v10, 0, 0x3ff00000, vcc_lo
	s_delay_alu instid0(VALU_DEP_3) | instskip(NEXT) | instid1(VALU_DEP_2)
	v_add_f64_e32 v[15:16], v[15:16], v[17:18]
	v_add_f64_e64 v[17:18], v[39:40], -v[9:10]
	s_delay_alu instid0(VALU_DEP_1) | instskip(SKIP_1) | instid1(VALU_DEP_1)
	v_add_f64_e32 v[27:28], v[17:18], v[15:16]
	s_wait_alu 0xfffe
	v_mul_f64_e32 v[29:30], s[8:9], v[27:28]
	v_add_f64_e64 v[17:18], v[27:28], -v[17:18]
	s_delay_alu instid0(VALU_DEP_2) | instskip(NEXT) | instid1(VALU_DEP_2)
	v_fma_f64 v[35:36], v[27:28], s[8:9], -v[29:30]
	v_add_f64_e64 v[15:16], v[15:16], -v[17:18]
	s_delay_alu instid0(VALU_DEP_2) | instskip(NEXT) | instid1(VALU_DEP_1)
	v_fma_f64 v[17:18], v[27:28], s[12:13], v[35:36]
	v_fma_f64 v[17:18], v[15:16], s[8:9], v[17:18]
	s_delay_alu instid0(VALU_DEP_1) | instskip(NEXT) | instid1(VALU_DEP_1)
	v_add_f64_e32 v[15:16], v[29:30], v[17:18]
	v_add_f64_e64 v[27:28], v[15:16], -v[29:30]
	s_delay_alu instid0(VALU_DEP_1)
	v_add_f64_e64 v[17:18], v[17:18], -v[27:28]
	s_and_not1_saveexec_b32 s1, s1
	s_cbranch_execz .LBB0_16
	s_branch .LBB0_15
.LBB0_14:                               ;   in Loop: Header=BB0_12 Depth=1
	s_wait_alu 0xfffe
	s_and_not1_saveexec_b32 s1, s1
	s_cbranch_execz .LBB0_16
.LBB0_15:                               ;   in Loop: Header=BB0_12 Depth=1
	v_mul_f64_e64 v[15:16], |v[13:14]|, s[14:15]
	s_mov_b32 s10, s16
	s_delay_alu instid0(VALU_DEP_1) | instskip(NEXT) | instid1(VALU_DEP_1)
	v_rndne_f64_e32 v[27:28], v[15:16]
	v_fma_f64 v[15:16], v[27:28], s[6:7], |v[13:14]|
	v_mul_f64_e32 v[17:18], s[16:17], v[27:28]
	v_cvt_i32_f64_e32 v33, v[27:28]
	s_delay_alu instid0(VALU_DEP_3) | instskip(NEXT) | instid1(VALU_DEP_3)
	v_fma_f64 v[35:36], v[27:28], s[16:17], v[15:16]
	v_add_f64_e32 v[29:30], v[15:16], v[17:18]
	s_delay_alu instid0(VALU_DEP_1) | instskip(NEXT) | instid1(VALU_DEP_3)
	v_add_f64_e64 v[15:16], v[15:16], -v[29:30]
	v_add_f64_e64 v[29:30], v[29:30], -v[35:36]
	s_delay_alu instid0(VALU_DEP_2) | instskip(SKIP_2) | instid1(VALU_DEP_2)
	v_add_f64_e32 v[15:16], v[15:16], v[17:18]
	s_wait_alu 0xfffe
	v_fma_f64 v[17:18], v[27:28], s[10:11], v[17:18]
	v_add_f64_e32 v[15:16], v[29:30], v[15:16]
	s_delay_alu instid0(VALU_DEP_1) | instskip(NEXT) | instid1(VALU_DEP_1)
	v_add_f64_e64 v[15:16], v[15:16], -v[17:18]
	v_fma_f64 v[17:18], v[27:28], s[18:19], v[15:16]
	s_delay_alu instid0(VALU_DEP_1) | instskip(NEXT) | instid1(VALU_DEP_1)
	v_add_f64_e32 v[15:16], v[35:36], v[17:18]
	v_add_f64_e64 v[29:30], v[15:16], -v[35:36]
	s_delay_alu instid0(VALU_DEP_1)
	v_add_f64_e64 v[17:18], v[17:18], -v[29:30]
.LBB0_16:                               ;   in Loop: Header=BB0_12 Depth=1
	s_wait_alu 0xfffe
	s_or_b32 exec_lo, exec_lo, s1
                                        ; implicit-def: $vgpr35
                                        ; implicit-def: $vgpr27_vgpr28
                                        ; implicit-def: $vgpr29_vgpr30
	s_and_saveexec_b32 s1, s0
	s_wait_alu 0xfffe
	s_xor_b32 s0, exec_lo, s1
	s_cbranch_execz .LBB0_18
; %bb.17:                               ;   in Loop: Header=BB0_12 Depth=1
	v_cmp_le_f64_e64 vcc_lo, 0x7b000000, |v[13:14]|
	s_mov_b32 s8, s6
	s_mov_b32 s13, s11
	s_wait_alu 0xfffd
	v_dual_cndmask_b32 v26, v34, v26 :: v_dual_cndmask_b32 v25, v13, v25
	s_delay_alu instid0(VALU_DEP_1) | instskip(SKIP_2) | instid1(VALU_DEP_3)
	v_mul_f64_e32 v[27:28], v[23:24], v[25:26]
	v_mul_f64_e32 v[29:30], v[21:22], v[25:26]
	;; [unrolled: 1-line block ×3, first 2 shown]
	v_fma_f64 v[23:24], v[23:24], v[25:26], -v[27:28]
	s_delay_alu instid0(VALU_DEP_3) | instskip(NEXT) | instid1(VALU_DEP_3)
	v_fma_f64 v[21:22], v[21:22], v[25:26], -v[29:30]
	v_fma_f64 v[19:20], v[19:20], v[25:26], -v[42:43]
	s_delay_alu instid0(VALU_DEP_3) | instskip(NEXT) | instid1(VALU_DEP_1)
	v_add_f64_e32 v[34:35], v[29:30], v[23:24]
	v_add_f64_e64 v[36:37], v[34:35], -v[29:30]
	v_add_f64_e32 v[40:41], v[27:28], v[34:35]
	s_delay_alu instid0(VALU_DEP_2) | instskip(SKIP_1) | instid1(VALU_DEP_3)
	v_add_f64_e64 v[38:39], v[34:35], -v[36:37]
	v_add_f64_e64 v[23:24], v[23:24], -v[36:37]
	v_ldexp_f64 v[36:37], v[40:41], -2
	v_add_f64_e64 v[27:28], v[40:41], -v[27:28]
	s_delay_alu instid0(VALU_DEP_4) | instskip(SKIP_1) | instid1(VALU_DEP_4)
	v_add_f64_e64 v[29:30], v[29:30], -v[38:39]
	v_add_f64_e32 v[38:39], v[42:43], v[21:22]
	v_cmp_neq_f64_e64 vcc_lo, 0x7ff00000, |v[36:37]|
	s_delay_alu instid0(VALU_DEP_4) | instskip(NEXT) | instid1(VALU_DEP_4)
	v_add_f64_e64 v[27:28], v[34:35], -v[27:28]
	v_add_f64_e32 v[23:24], v[23:24], v[29:30]
	v_fract_f64_e32 v[29:30], v[36:37]
	s_delay_alu instid0(VALU_DEP_2) | instskip(NEXT) | instid1(VALU_DEP_2)
	v_add_f64_e32 v[34:35], v[38:39], v[23:24]
	v_ldexp_f64 v[29:30], v[29:30], 2
	s_delay_alu instid0(VALU_DEP_2) | instskip(SKIP_1) | instid1(VALU_DEP_2)
	v_add_f64_e32 v[36:37], v[27:28], v[34:35]
	s_wait_alu 0xfffd
	v_dual_cndmask_b32 v30, 0, v30 :: v_dual_cndmask_b32 v29, 0, v29
	v_add_f64_e64 v[44:45], v[34:35], -v[38:39]
	s_delay_alu instid0(VALU_DEP_2) | instskip(SKIP_1) | instid1(VALU_DEP_3)
	v_add_f64_e32 v[40:41], v[36:37], v[29:30]
	v_add_f64_e64 v[25:26], v[36:37], -v[27:28]
	v_add_f64_e64 v[50:51], v[34:35], -v[44:45]
	;; [unrolled: 1-line block ×3, first 2 shown]
	s_delay_alu instid0(VALU_DEP_4) | instskip(SKIP_4) | instid1(VALU_DEP_3)
	v_cmp_gt_f64_e32 vcc_lo, 0, v[40:41]
	v_add_f64_e64 v[40:41], v[38:39], -v[42:43]
	v_add_f64_e64 v[25:26], v[34:35], -v[25:26]
	s_wait_alu 0xfffd
	v_cndmask_b32_e64 v10, 0, 0x40100000, vcc_lo
	v_add_f64_e64 v[48:49], v[38:39], -v[40:41]
	v_add_f64_e64 v[21:22], v[21:22], -v[40:41]
	;; [unrolled: 1-line block ×3, first 2 shown]
	s_delay_alu instid0(VALU_DEP_4) | instskip(NEXT) | instid1(VALU_DEP_4)
	v_add_f64_e32 v[29:30], v[29:30], v[9:10]
	v_add_f64_e64 v[40:41], v[42:43], -v[48:49]
	s_delay_alu instid0(VALU_DEP_3) | instskip(NEXT) | instid1(VALU_DEP_3)
	v_add_f64_e32 v[23:24], v[23:24], v[38:39]
	v_add_f64_e32 v[46:47], v[36:37], v[29:30]
	s_delay_alu instid0(VALU_DEP_3) | instskip(NEXT) | instid1(VALU_DEP_2)
	v_add_f64_e32 v[21:22], v[21:22], v[40:41]
	v_cvt_i32_f64_e32 v10, v[46:47]
	s_delay_alu instid0(VALU_DEP_2) | instskip(NEXT) | instid1(VALU_DEP_2)
	v_add_f64_e32 v[21:22], v[21:22], v[23:24]
	v_cvt_f64_i32_e32 v[44:45], v10
	s_delay_alu instid0(VALU_DEP_2) | instskip(NEXT) | instid1(VALU_DEP_2)
	v_add_f64_e32 v[19:20], v[19:20], v[21:22]
	v_add_f64_e64 v[29:30], v[29:30], -v[44:45]
	s_delay_alu instid0(VALU_DEP_2) | instskip(NEXT) | instid1(VALU_DEP_2)
	v_add_f64_e32 v[19:20], v[25:26], v[19:20]
	v_add_f64_e32 v[23:24], v[36:37], v[29:30]
	s_delay_alu instid0(VALU_DEP_1) | instskip(SKIP_1) | instid1(VALU_DEP_2)
	v_add_f64_e64 v[21:22], v[23:24], -v[29:30]
	v_cmp_le_f64_e32 vcc_lo, 0.5, v[23:24]
	v_add_f64_e64 v[21:22], v[36:37], -v[21:22]
	s_wait_alu 0xfffd
	v_add_co_ci_u32_e64 v35, null, 0, v10, vcc_lo
	v_cndmask_b32_e64 v10, 0, 0x3ff00000, vcc_lo
	s_delay_alu instid0(VALU_DEP_3) | instskip(NEXT) | instid1(VALU_DEP_2)
	v_add_f64_e32 v[19:20], v[19:20], v[21:22]
	v_add_f64_e64 v[21:22], v[23:24], -v[9:10]
	s_delay_alu instid0(VALU_DEP_1) | instskip(SKIP_1) | instid1(VALU_DEP_1)
	v_add_f64_e32 v[23:24], v[21:22], v[19:20]
	s_wait_alu 0xfffe
	v_mul_f64_e32 v[25:26], s[8:9], v[23:24]
	v_add_f64_e64 v[21:22], v[23:24], -v[21:22]
	s_delay_alu instid0(VALU_DEP_2) | instskip(NEXT) | instid1(VALU_DEP_2)
	v_fma_f64 v[27:28], v[23:24], s[8:9], -v[25:26]
	v_add_f64_e64 v[19:20], v[19:20], -v[21:22]
	s_delay_alu instid0(VALU_DEP_2) | instskip(NEXT) | instid1(VALU_DEP_1)
	v_fma_f64 v[21:22], v[23:24], s[12:13], v[27:28]
	v_fma_f64 v[19:20], v[19:20], s[8:9], v[21:22]
	s_delay_alu instid0(VALU_DEP_1) | instskip(NEXT) | instid1(VALU_DEP_1)
	v_add_f64_e32 v[27:28], v[25:26], v[19:20]
	v_add_f64_e64 v[21:22], v[27:28], -v[25:26]
	s_delay_alu instid0(VALU_DEP_1)
	v_add_f64_e64 v[29:30], v[19:20], -v[21:22]
	s_and_not1_saveexec_b32 s0, s0
	s_cbranch_execz .LBB0_11
	s_branch .LBB0_19
.LBB0_18:                               ;   in Loop: Header=BB0_12 Depth=1
	s_wait_alu 0xfffe
	s_and_not1_saveexec_b32 s0, s0
	s_cbranch_execz .LBB0_11
.LBB0_19:                               ;   in Loop: Header=BB0_12 Depth=1
	v_mul_f64_e64 v[19:20], |v[13:14]|, s[14:15]
	s_mov_b32 s10, s16
	s_delay_alu instid0(VALU_DEP_1) | instskip(NEXT) | instid1(VALU_DEP_1)
	v_rndne_f64_e32 v[19:20], v[19:20]
	v_fma_f64 v[21:22], v[19:20], s[6:7], |v[13:14]|
	v_mul_f64_e32 v[23:24], s[16:17], v[19:20]
	v_cvt_i32_f64_e32 v35, v[19:20]
	s_delay_alu instid0(VALU_DEP_3) | instskip(NEXT) | instid1(VALU_DEP_3)
	v_fma_f64 v[29:30], v[19:20], s[16:17], v[21:22]
	v_add_f64_e32 v[25:26], v[21:22], v[23:24]
	s_delay_alu instid0(VALU_DEP_1) | instskip(NEXT) | instid1(VALU_DEP_3)
	v_add_f64_e64 v[21:22], v[21:22], -v[25:26]
	v_add_f64_e64 v[25:26], v[25:26], -v[29:30]
	s_delay_alu instid0(VALU_DEP_2) | instskip(SKIP_2) | instid1(VALU_DEP_2)
	v_add_f64_e32 v[21:22], v[21:22], v[23:24]
	s_wait_alu 0xfffe
	v_fma_f64 v[23:24], v[19:20], s[10:11], v[23:24]
	v_add_f64_e32 v[21:22], v[25:26], v[21:22]
	s_delay_alu instid0(VALU_DEP_1) | instskip(NEXT) | instid1(VALU_DEP_1)
	v_add_f64_e64 v[21:22], v[21:22], -v[23:24]
	v_fma_f64 v[21:22], v[19:20], s[18:19], v[21:22]
	s_delay_alu instid0(VALU_DEP_1) | instskip(NEXT) | instid1(VALU_DEP_1)
	v_add_f64_e32 v[27:28], v[29:30], v[21:22]
	v_add_f64_e64 v[23:24], v[27:28], -v[29:30]
	s_delay_alu instid0(VALU_DEP_1)
	v_add_f64_e64 v[29:30], v[21:22], -v[23:24]
	s_branch .LBB0_11
.LBB0_20:
	s_clause 0x6
	scratch_load_b64 v[2:3], off, off offset:64
	scratch_load_b64 v[4:5], off, off offset:32
	;; [unrolled: 1-line block ×7, first 2 shown]
	v_mul_u32_u24_e32 v19, 0x240, v32
	v_add_nc_u32_e32 v21, 0x800, v6
	s_mov_b32 s0, 0x667f3bcd
	s_mov_b32 s1, 0x3fe6a09e
	s_wait_loadcnt 0x6
	ds_store_2addr_b64 v6, v[0:1], v[2:3] offset1:72
	s_wait_loadcnt 0x2
	ds_store_2addr_b64 v6, v[4:5], v[13:14] offset0:144 offset1:216
	s_wait_loadcnt 0x0
	ds_store_2addr_b64 v21, v[11:12], v[17:18] offset0:32 offset1:104
	ds_store_2addr_b64 v21, v[9:10], v[15:16] offset0:176 offset1:248
	v_lshl_or_b32 v39, v31, 3, v19
	s_wait_storecnt_dscnt 0x0
	s_barrier_signal -1
	s_barrier_wait -1
	global_inv scope:SCOPE_SE
	ds_load_2addr_b64 v[0:3], v39 offset1:8
	ds_load_2addr_b64 v[9:12], v39 offset0:16 offset1:24
	ds_load_2addr_b64 v[13:16], v39 offset0:32 offset1:40
	;; [unrolled: 1-line block ×3, first 2 shown]
	s_wait_dscnt 0x3
	s_clause 0x1
	scratch_store_b64 off, v[0:1], off
	scratch_store_b64 off, v[2:3], off offset:16
	s_wait_dscnt 0x2
	s_clause 0x1
	scratch_store_b64 off, v[9:10], off offset:32
	scratch_store_b64 off, v[11:12], off offset:48
	s_wait_dscnt 0x1
	s_clause 0x1
	scratch_store_b64 off, v[13:14], off offset:64
	;; [unrolled: 4-line block ×3, first 2 shown]
	scratch_store_b64 off, v[19:20], off offset:112
	s_wait_loadcnt 0x0
	s_wait_storecnt 0x0
	s_barrier_signal -1
	s_barrier_wait -1
	global_inv scope:SCOPE_SE
	s_clause 0x7
	scratch_load_b64 v[0:1], off, off offset:8
	scratch_load_b64 v[2:3], off, off offset:40
	;; [unrolled: 1-line block ×8, first 2 shown]
	s_wait_loadcnt 0x3
	ds_store_2addr_b64 v6, v[0:1], v[11:12] offset1:72
	s_wait_loadcnt 0x2
	ds_store_2addr_b64 v6, v[2:3], v[13:14] offset0:144 offset1:216
	s_wait_loadcnt 0x0
	ds_store_2addr_b64 v21, v[9:10], v[17:18] offset0:32 offset1:104
	ds_store_2addr_b64 v21, v[4:5], v[15:16] offset0:176 offset1:248
	s_wait_dscnt 0x0
	s_barrier_signal -1
	s_barrier_wait -1
	global_inv scope:SCOPE_SE
	s_clause 0x7
	scratch_load_b64 v[4:5], off, off offset:112
	scratch_load_b64 v[21:22], off, off offset:48
	;; [unrolled: 1-line block ×6, first 2 shown]
	scratch_load_b64 v[31:32], off, off
	scratch_load_b64 v[33:34], off, off offset:64
	ds_load_2addr_b64 v[0:3], v39 offset0:16 offset1:24
	ds_load_2addr_b64 v[9:12], v39 offset0:48 offset1:56
	ds_load_2addr_b64 v[13:16], v39 offset1:8
	ds_load_2addr_b64 v[17:20], v39 offset0:32 offset1:40
	s_wait_dscnt 0x2
	v_add_f64_e64 v[35:36], v[2:3], -v[11:12]
	s_wait_dscnt 0x0
	v_add_f64_e64 v[39:40], v[15:16], -v[19:20]
	v_add_f64_e32 v[15:16], v[15:16], v[19:20]
	v_add_f64_e32 v[2:3], v[2:3], v[11:12]
	v_add_f64_e64 v[19:20], v[0:1], -v[9:10]
	v_add_f64_e32 v[0:1], v[0:1], v[9:10]
	s_wait_loadcnt 0x6
	v_add_f64_e64 v[37:38], v[21:22], -v[4:5]
	v_add_f64_e32 v[4:5], v[21:22], v[4:5]
	s_wait_loadcnt 0x4
	;; [unrolled: 3-line block ×4, first 2 shown]
	v_add_f64_e32 v[9:10], v[31:32], v[33:34]
	v_add_f64_e64 v[31:32], v[31:32], -v[33:34]
	v_add_f64_e64 v[43:44], v[35:36], -v[37:38]
	v_add_f64_e64 v[35:36], -v[35:36], -v[37:38]
	v_add_f64_e32 v[23:24], v[41:42], v[39:40]
	v_add_f64_e64 v[25:26], v[39:40], -v[41:42]
	v_add_f64_e32 v[39:40], v[13:14], v[17:18]
	v_add_f64_e64 v[13:14], v[13:14], -v[17:18]
	v_add_f64_e64 v[17:18], v[15:16], -v[2:3]
	;; [unrolled: 1-line block ×3, first 2 shown]
	v_fma_f64 v[33:34], v[21:22], 0, v[19:20]
	v_fma_f64 v[19:20], v[19:20], 0, -v[21:22]
	v_add_f64_e32 v[4:5], v[11:12], v[4:5]
	s_wait_alu 0xfffe
	v_mul_f64_e32 v[37:38], s[0:1], v[43:44]
	v_mul_f64_e32 v[35:36], s[0:1], v[35:36]
	v_add_f64_e32 v[43:44], v[39:40], v[0:1]
	v_add_f64_e64 v[39:40], v[39:40], -v[0:1]
	v_add_f64_e32 v[0:1], v[15:16], v[2:3]
	v_add_f64_e32 v[15:16], v[9:10], v[27:28]
	v_add_f64_e64 v[27:28], v[9:10], -v[27:28]
	v_fma_f64 v[45:46], v[29:30], 0, v[17:18]
	v_fma_f64 v[29:30], v[17:18], 0, -v[29:30]
	v_add_f64_e32 v[47:48], v[31:32], v[33:34]
	v_add_f64_e32 v[49:50], v[13:14], v[19:20]
	v_add_f64_e64 v[33:34], v[31:32], -v[33:34]
	v_add_f64_e64 v[51:52], v[13:14], -v[19:20]
	v_fma_f64 v[21:22], v[23:24], s[0:1], -v[37:38]
	v_fma_f64 v[41:42], v[25:26], s[0:1], -v[35:36]
	v_fma_f64 v[37:38], v[23:24], s[0:1], v[37:38]
	v_fma_f64 v[35:36], v[25:26], s[0:1], v[35:36]
	v_add_f64_e32 v[2:3], v[43:44], v[0:1]
	v_add_f64_e64 v[11:12], v[43:44], -v[0:1]
	v_add_f64_e32 v[0:1], v[15:16], v[4:5]
	v_add_f64_e64 v[9:10], v[15:16], -v[4:5]
	v_add_f64_e32 v[13:14], v[27:28], v[45:46]
	v_add_f64_e32 v[15:16], v[39:40], v[29:30]
	v_add_f64_e64 v[17:18], v[27:28], -v[45:46]
	v_add_f64_e64 v[19:20], v[39:40], -v[29:30]
	v_add_co_u32 v4, vcc_lo, v7, 0x1c00
	s_wait_alu 0xfffd
	v_add_co_ci_u32_e64 v5, null, 0, v8, vcc_lo
	s_clause 0x1
	scratch_store_b128 off, v[0:3], off
	scratch_store_b128 off, v[9:12], off offset:16
	v_fma_f64 v[53:54], v[21:22], 0, v[41:42]
	v_fma_f64 v[41:42], v[41:42], 0, -v[21:22]
	v_add_f64_e32 v[21:22], v[47:48], v[37:38]
	v_add_f64_e32 v[23:24], v[49:50], v[35:36]
	v_add_f64_e64 v[25:26], v[47:48], -v[37:38]
	v_add_f64_e64 v[27:28], v[49:50], -v[35:36]
	scratch_load_b128 v[0:3], off, off
	s_clause 0x1
	scratch_store_b128 off, v[13:16], off offset:32
	scratch_store_b128 off, v[17:20], off offset:48
	s_clause 0x1
	scratch_load_b128 v[9:12], off, s48
	scratch_load_b128 v[13:16], off, s46
	s_clause 0x1
	scratch_store_b128 off, v[21:24], off offset:64
	scratch_store_b128 off, v[25:28], off offset:80
	v_add_f64_e32 v[29:30], v[33:34], v[53:54]
	v_add_f64_e32 v[31:32], v[51:52], v[41:42]
	v_add_f64_e64 v[33:34], v[33:34], -v[53:54]
	v_add_f64_e64 v[35:36], v[51:52], -v[41:42]
	scratch_load_b128 v[17:20], off, s47
	scratch_store_b128 off, v[29:32], off offset:96
	s_clause 0x2
	scratch_load_b128 v[21:24], off, s51
	scratch_load_b128 v[25:28], off, s33
	;; [unrolled: 1-line block ×3, first 2 shown]
	scratch_store_b128 off, v[33:36], off offset:112
	scratch_load_b128 v[33:36], off, s49
	s_wait_loadcnt 0x7
	global_store_b128 v[7:8], v[0:3], off
	s_wait_loadcnt 0x4
	s_clause 0x1
	global_store_b128 v[4:5], v[17:20], off offset:-6144
	global_store_b128 v[4:5], v[9:12], off offset:-5120
	s_wait_loadcnt 0x3
	s_clause 0x1
	global_store_b128 v[4:5], v[21:24], off offset:-4096
	global_store_b128 v[4:5], v[13:16], off offset:-3072
	;; [unrolled: 4-line block ×3, first 2 shown]
	s_wait_loadcnt 0x0
	global_store_b128 v[4:5], v[33:36], off
	s_endpgm
	.section	.rodata,"a",@progbits
	.p2align	6, 0x0
	.amdhsa_kernel _Z9fft1D_512P15HIP_vector_typeIdLj2EE
		.amdhsa_group_segment_fixed_size 4608
		.amdhsa_private_segment_fixed_size 144
		.amdhsa_kernarg_size 8
		.amdhsa_user_sgpr_count 2
		.amdhsa_user_sgpr_dispatch_ptr 0
		.amdhsa_user_sgpr_queue_ptr 0
		.amdhsa_user_sgpr_kernarg_segment_ptr 1
		.amdhsa_user_sgpr_dispatch_id 0
		.amdhsa_user_sgpr_private_segment_size 0
		.amdhsa_wavefront_size32 1
		.amdhsa_uses_dynamic_stack 0
		.amdhsa_enable_private_segment 1
		.amdhsa_system_sgpr_workgroup_id_x 1
		.amdhsa_system_sgpr_workgroup_id_y 0
		.amdhsa_system_sgpr_workgroup_id_z 0
		.amdhsa_system_sgpr_workgroup_info 0
		.amdhsa_system_vgpr_workitem_id 0
		.amdhsa_next_free_vgpr 60
		.amdhsa_next_free_sgpr 54
		.amdhsa_reserve_vcc 1
		.amdhsa_float_round_mode_32 0
		.amdhsa_float_round_mode_16_64 0
		.amdhsa_float_denorm_mode_32 3
		.amdhsa_float_denorm_mode_16_64 3
		.amdhsa_fp16_overflow 0
		.amdhsa_workgroup_processor_mode 1
		.amdhsa_memory_ordered 1
		.amdhsa_forward_progress 1
		.amdhsa_inst_pref_size 68
		.amdhsa_round_robin_scheduling 0
		.amdhsa_exception_fp_ieee_invalid_op 0
		.amdhsa_exception_fp_denorm_src 0
		.amdhsa_exception_fp_ieee_div_zero 0
		.amdhsa_exception_fp_ieee_overflow 0
		.amdhsa_exception_fp_ieee_underflow 0
		.amdhsa_exception_fp_ieee_inexact 0
		.amdhsa_exception_int_div_zero 0
	.end_amdhsa_kernel
	.text
.Lfunc_end0:
	.size	_Z9fft1D_512P15HIP_vector_typeIdLj2EE, .Lfunc_end0-_Z9fft1D_512P15HIP_vector_typeIdLj2EE
                                        ; -- End function
	.set _Z9fft1D_512P15HIP_vector_typeIdLj2EE.num_vgpr, 60
	.set _Z9fft1D_512P15HIP_vector_typeIdLj2EE.num_agpr, 0
	.set _Z9fft1D_512P15HIP_vector_typeIdLj2EE.numbered_sgpr, 54
	.set _Z9fft1D_512P15HIP_vector_typeIdLj2EE.num_named_barrier, 0
	.set _Z9fft1D_512P15HIP_vector_typeIdLj2EE.private_seg_size, 144
	.set _Z9fft1D_512P15HIP_vector_typeIdLj2EE.uses_vcc, 1
	.set _Z9fft1D_512P15HIP_vector_typeIdLj2EE.uses_flat_scratch, 1
	.set _Z9fft1D_512P15HIP_vector_typeIdLj2EE.has_dyn_sized_stack, 0
	.set _Z9fft1D_512P15HIP_vector_typeIdLj2EE.has_recursion, 0
	.set _Z9fft1D_512P15HIP_vector_typeIdLj2EE.has_indirect_call, 0
	.section	.AMDGPU.csdata,"",@progbits
; Kernel info:
; codeLenInByte = 8592
; TotalNumSgprs: 56
; NumVgprs: 60
; ScratchSize: 144
; MemoryBound: 0
; FloatMode: 240
; IeeeMode: 1
; LDSByteSize: 4608 bytes/workgroup (compile time only)
; SGPRBlocks: 0
; VGPRBlocks: 7
; NumSGPRsForWavesPerEU: 56
; NumVGPRsForWavesPerEU: 60
; Occupancy: 16
; WaveLimiterHint : 1
; COMPUTE_PGM_RSRC2:SCRATCH_EN: 1
; COMPUTE_PGM_RSRC2:USER_SGPR: 2
; COMPUTE_PGM_RSRC2:TRAP_HANDLER: 0
; COMPUTE_PGM_RSRC2:TGID_X_EN: 1
; COMPUTE_PGM_RSRC2:TGID_Y_EN: 0
; COMPUTE_PGM_RSRC2:TGID_Z_EN: 0
; COMPUTE_PGM_RSRC2:TIDIG_COMP_CNT: 0
	.text
	.protected	_Z10ifft1D_512P15HIP_vector_typeIdLj2EE ; -- Begin function _Z10ifft1D_512P15HIP_vector_typeIdLj2EE
	.globl	_Z10ifft1D_512P15HIP_vector_typeIdLj2EE
	.p2align	8
	.type	_Z10ifft1D_512P15HIP_vector_typeIdLj2EE,@function
_Z10ifft1D_512P15HIP_vector_typeIdLj2EE: ; @_Z10ifft1D_512P15HIP_vector_typeIdLj2EE
; %bb.0:
	s_load_b64 s[0:1], s[0:1], 0x0
	v_lshl_add_u32 v1, ttmp9, 9, v0
	s_mov_b32 s4, 0x54442d18
	s_mov_b32 s6, 0x54442d18
	s_mov_b32 s14, 0x6dc9c883
	s_mov_b32 s16, 0x33145c00
	v_ashrrev_i32_e32 v2, 31, v1
	s_mov_b32 s18, 0x252049c0
	s_mov_b32 s20, 0x9037ab78
	;; [unrolled: 1-line block ×4, first 2 shown]
	v_lshlrev_b64_e32 v[1:2], 4, v[1:2]
	s_mov_b32 s26, 0x19f4ec90
	s_mov_b32 s28, 0x16c16967
	;; [unrolled: 1-line block ×8, first 2 shown]
	s_wait_kmcnt 0x0
	v_add_co_u32 v7, vcc_lo, s0, v1
	s_delay_alu instid0(VALU_DEP_1)
	v_add_co_ci_u32_e64 v8, null, s1, v2, vcc_lo
	s_mov_b32 s0, 0x667f3bcd
	s_mov_b32 s1, 0x3fe6a09e
	s_mov_b32 s46, 16
	s_clause 0x7
	global_load_b128 v[1:4], v[7:8], off offset:3072
	global_load_b128 v[9:12], v[7:8], off offset:7168
	;; [unrolled: 1-line block ×6, first 2 shown]
	global_load_b128 v[29:32], v[7:8], off
	global_load_b128 v[33:36], v[7:8], off offset:4096
	s_mov_b32 s48, 32
	s_mov_b32 s33, 48
	s_mov_b32 s47, 64
	s_movk_i32 s50, 0x50
	s_movk_i32 s51, 0x60
	;; [unrolled: 1-line block ×3, first 2 shown]
	s_mov_b32 s52, 0
	s_mov_b32 s5, 0x401921fb
	;; [unrolled: 1-line block ×22, first 2 shown]
	s_getpc_b64 s[2:3]
	s_sext_i32_i16 s3, s3
	s_add_co_u32 s2, s2, __const._Z10ifft1D_512P15HIP_vector_typeIdLj2EE.reversed@rel32@lo+12
	s_add_co_ci_u32 s3, s3, __const._Z10ifft1D_512P15HIP_vector_typeIdLj2EE.reversed@rel32@hi+20
	s_wait_loadcnt 0x6
	v_add_f64_e64 v[5:6], v[1:2], -v[9:10]
	v_add_f64_e64 v[37:38], v[3:4], -v[11:12]
	s_wait_loadcnt 0x4
	v_add_f64_e64 v[39:40], v[13:14], -v[17:18]
	v_add_f64_e64 v[41:42], v[15:16], -v[19:20]
	v_add_f64_e32 v[13:14], v[13:14], v[17:18]
	v_add_f64_e32 v[15:16], v[15:16], v[19:20]
	;; [unrolled: 1-line block ×4, first 2 shown]
	s_wait_loadcnt 0x2
	v_add_f64_e64 v[9:10], v[21:22], -v[25:26]
	v_add_f64_e64 v[11:12], v[23:24], -v[27:28]
	v_add_f64_e32 v[21:22], v[21:22], v[25:26]
	v_add_f64_e32 v[23:24], v[23:24], v[27:28]
	s_wait_loadcnt 0x0
	v_add_f64_e64 v[25:26], v[29:30], -v[33:34]
	v_add_f64_e64 v[43:44], -v[5:6], -v[37:38]
	v_add_f64_e64 v[5:6], v[5:6], -v[37:38]
	v_add_f64_e64 v[17:18], v[39:40], -v[41:42]
	v_add_f64_e32 v[19:20], v[39:40], v[41:42]
	v_add_f64_e32 v[39:40], v[29:30], v[33:34]
	;; [unrolled: 1-line block ×3, first 2 shown]
	v_add_f64_e64 v[27:28], v[13:14], -v[1:2]
	v_add_f64_e64 v[29:30], v[15:16], -v[3:4]
	;; [unrolled: 1-line block ×3, first 2 shown]
	v_fma_f64 v[33:34], v[9:10], 0, -v[11:12]
	v_fma_f64 v[9:10], v[11:12], 0, v[9:10]
	v_add_f64_e32 v[13:14], v[13:14], v[1:2]
	v_add_f64_e32 v[15:16], v[15:16], v[3:4]
	s_wait_alu 0xfffe
	v_mul_f64_e32 v[37:38], s[0:1], v[43:44]
	v_mul_f64_e32 v[5:6], s[0:1], v[5:6]
	v_add_f64_e32 v[43:44], v[39:40], v[21:22]
	v_add_f64_e32 v[45:46], v[41:42], v[23:24]
	v_add_f64_e64 v[21:22], v[39:40], -v[21:22]
	v_add_f64_e64 v[23:24], v[41:42], -v[23:24]
	v_fma_f64 v[39:40], v[27:28], 0, -v[29:30]
	v_fma_f64 v[27:28], v[29:30], 0, v[27:28]
	v_add_f64_e32 v[41:42], v[31:32], v[9:10]
	v_add_f64_e64 v[49:50], v[31:32], -v[9:10]
	v_add_f64_e32 v[29:30], v[25:26], v[33:34]
	v_add_f64_e64 v[47:48], v[25:26], -v[33:34]
	v_mov_b32_e32 v9, 0
	v_fma_f64 v[11:12], v[17:18], s[0:1], -v[37:38]
	v_fma_f64 v[35:36], v[19:20], s[0:1], -v[5:6]
	v_fma_f64 v[37:38], v[17:18], s[0:1], v[37:38]
	v_fma_f64 v[5:6], v[19:20], s[0:1], v[5:6]
	v_add_f64_e32 v[1:2], v[43:44], v[13:14]
	v_add_f64_e32 v[3:4], v[45:46], v[15:16]
	v_add_f64_e64 v[13:14], v[43:44], -v[13:14]
	v_add_f64_e64 v[15:16], v[45:46], -v[15:16]
	v_add_f64_e32 v[17:18], v[21:22], v[39:40]
	v_add_f64_e64 v[21:22], v[21:22], -v[39:40]
	v_add_f64_e32 v[19:20], v[23:24], v[27:28]
	v_add_f64_e64 v[23:24], v[23:24], -v[27:28]
	v_fma_f64 v[51:52], v[11:12], 0, -v[35:36]
	v_fma_f64 v[10:11], v[35:36], 0, v[11:12]
	v_add_f64_e32 v[25:26], v[29:30], v[37:38]
	v_add_f64_e32 v[27:28], v[41:42], v[5:6]
	v_add_f64_e64 v[29:30], v[29:30], -v[37:38]
	v_add_f64_e64 v[31:32], v[41:42], -v[5:6]
	v_add_f64_e32 v[33:34], v[47:48], v[51:52]
	v_add_f64_e32 v[35:36], v[49:50], v[10:11]
	v_add_f64_e64 v[39:40], v[49:50], -v[10:11]
	v_cvt_f64_u32_e32 v[11:12], v0
	v_add_f64_e64 v[37:38], v[47:48], -v[51:52]
	s_clause 0x7
	scratch_store_b128 off, v[1:4], off
	scratch_store_b128 off, v[13:16], off offset:16
	scratch_store_b128 off, v[17:20], off offset:32
	scratch_store_b128 off, v[21:24], off offset:48
	scratch_store_b128 off, v[25:28], off offset:64
	scratch_store_b128 off, v[29:32], off offset:80
	scratch_store_b128 off, v[33:36], off offset:96
	scratch_store_b128 off, v[37:40], off offset:112
	s_branch .LBB1_2
.LBB1_1:                                ;   in Loop: Header=BB1_2 Depth=1
	s_wait_alu 0xfffe
	s_or_b32 exec_lo, exec_lo, s0
	v_mul_f64_e32 v[19:20], v[15:16], v[15:16]
	v_mul_f64_e32 v[21:22], v[27:28], v[27:28]
	s_delay_alu instid0(VALU_DEP_3) | instskip(NEXT) | instid1(VALU_DEP_4)
	v_mul_f64_e32 v[46:47], 0.5, v[17:18]
	v_mul_f64_e32 v[52:53], 0.5, v[29:30]
	v_cmp_class_f64_e64 s0, v[13:14], 0x1f8
	v_and_b32_e32 v10, 1, v31
	s_add_co_i32 s52, s52, 16
	s_add_nc_u64 s[2:3], s[2:3], 4
	s_cmp_eq_u32 s52, 0x70
	v_lshlrev_b32_e32 v13, 30, v33
	v_cmp_eq_u32_e32 vcc_lo, 0, v10
	s_delay_alu instid0(VALU_DEP_2) | instskip(NEXT) | instid1(VALU_DEP_1)
	v_xor_b32_e32 v13, v13, v14
	v_and_b32_e32 v13, 0x80000000, v13
	v_fma_f64 v[23:24], v[19:20], s[36:37], s[34:35]
	v_fma_f64 v[25:26], v[21:22], s[36:37], s[34:35]
	;; [unrolled: 1-line block ×3, first 2 shown]
	v_mul_f64_e32 v[36:37], 0.5, v[19:20]
	v_fma_f64 v[38:39], v[21:22], s[22:23], s[20:21]
	v_mul_f64_e32 v[40:41], 0.5, v[21:22]
	v_mul_f64_e64 v[48:49], v[15:16], -v[19:20]
	v_mul_f64_e64 v[54:55], v[27:28], -v[21:22]
	v_fma_f64 v[23:24], v[19:20], v[23:24], s[38:39]
	v_fma_f64 v[25:26], v[21:22], v[25:26], s[38:39]
	;; [unrolled: 1-line block ×3, first 2 shown]
	v_add_f64_e64 v[42:43], -v[36:37], 1.0
	v_fma_f64 v[38:39], v[21:22], v[38:39], s[24:25]
	v_add_f64_e64 v[44:45], -v[40:41], 1.0
	v_fma_f64 v[23:24], v[19:20], v[23:24], s[40:41]
	v_fma_f64 v[25:26], v[21:22], v[25:26], s[40:41]
	;; [unrolled: 1-line block ×3, first 2 shown]
	v_add_f64_e64 v[50:51], -v[42:43], 1.0
	v_fma_f64 v[38:39], v[21:22], v[38:39], s[26:27]
	v_add_f64_e64 v[56:57], -v[44:45], 1.0
	v_fma_f64 v[23:24], v[19:20], v[23:24], s[42:43]
	v_fma_f64 v[25:26], v[21:22], v[25:26], s[42:43]
	;; [unrolled: 1-line block ×3, first 2 shown]
	v_add_f64_e64 v[36:37], v[50:51], -v[36:37]
	v_fma_f64 v[38:39], v[21:22], v[38:39], s[28:29]
	v_add_f64_e64 v[40:41], v[56:57], -v[40:41]
	v_fma_f64 v[23:24], v[48:49], v[23:24], v[46:47]
	v_fma_f64 v[25:26], v[54:55], v[25:26], v[52:53]
	v_mul_f64_e32 v[46:47], v[19:20], v[19:20]
	v_fma_f64 v[34:35], v[19:20], v[34:35], s[30:31]
	v_fma_f64 v[36:37], v[15:16], -v[17:18], v[36:37]
	v_fma_f64 v[17:18], v[19:20], v[23:24], -v[17:18]
	v_mul_f64_e32 v[19:20], v[21:22], v[21:22]
	v_fma_f64 v[23:24], v[21:22], v[38:39], s[30:31]
	v_fma_f64 v[38:39], v[27:28], -v[29:30], v[40:41]
	v_fma_f64 v[21:22], v[21:22], v[25:26], -v[29:30]
	v_fma_f64 v[25:26], v[46:47], v[34:35], v[36:37]
	v_fma_f64 v[17:18], v[48:49], s[44:45], v[17:18]
	s_delay_alu instid0(VALU_DEP_4) | instskip(NEXT) | instid1(VALU_DEP_4)
	v_fma_f64 v[19:20], v[19:20], v[23:24], v[38:39]
	v_fma_f64 v[21:22], v[54:55], s[44:45], v[21:22]
	s_delay_alu instid0(VALU_DEP_4) | instskip(NEXT) | instid1(VALU_DEP_4)
	v_add_f64_e32 v[23:24], v[42:43], v[25:26]
	v_add_f64_e64 v[15:16], v[15:16], -v[17:18]
	s_delay_alu instid0(VALU_DEP_4) | instskip(NEXT) | instid1(VALU_DEP_4)
	v_add_f64_e32 v[17:18], v[44:45], v[19:20]
	v_add_f64_e64 v[19:20], v[27:28], -v[21:22]
	s_wait_alu 0xfffd
	s_delay_alu instid0(VALU_DEP_3) | instskip(NEXT) | instid1(VALU_DEP_1)
	v_dual_cndmask_b32 v10, v15, v23 :: v_dual_and_b32 v15, 1, v33
	v_cmp_eq_u32_e64 s1, 0, v15
	s_wait_alu 0xf1ff
	s_delay_alu instid0(VALU_DEP_1) | instskip(NEXT) | instid1(VALU_DEP_4)
	v_cndmask_b32_e64 v15, v18, v20, s1
	v_cndmask_b32_e64 v14, v17, v19, s1
	s_delay_alu instid0(VALU_DEP_2) | instskip(NEXT) | instid1(VALU_DEP_2)
	v_xor_b32_e32 v15, v15, v13
	v_cndmask_b32_e64 v14, 0, v14, s0
	v_cndmask_b32_e64 v13, 0, v10, s0
	v_lshlrev_b32_e32 v10, 30, v31
	s_delay_alu instid0(VALU_DEP_4) | instskip(NEXT) | instid1(VALU_DEP_2)
	v_cndmask_b32_e64 v15, 0x7ff80000, v15, s0
	v_and_b32_e32 v10, 0x80000000, v10
	s_wait_loadcnt 0x0
	s_delay_alu instid0(VALU_DEP_2) | instskip(SKIP_2) | instid1(VALU_DEP_1)
	v_mul_f64_e32 v[17:18], v[5:6], v[14:15]
	v_mul_f64_e32 v[19:20], v[3:4], v[14:15]
	v_xor_b32_e32 v14, 0x80000000, v16
	v_cndmask_b32_e32 v14, v14, v24, vcc_lo
	s_delay_alu instid0(VALU_DEP_1) | instskip(NEXT) | instid1(VALU_DEP_1)
	v_xor_b32_e32 v10, v14, v10
	v_cndmask_b32_e64 v14, 0x7ff80000, v10, s0
	s_delay_alu instid0(VALU_DEP_1)
	v_fma_f64 v[3:4], v[3:4], v[13:14], -v[17:18]
	v_fma_f64 v[5:6], v[5:6], v[13:14], v[19:20]
	scratch_store_b128 off, v[3:6], s53 offset:16
	s_cbranch_scc1 .LBB1_10
.LBB1_2:                                ; =>This Inner Loop Header: Depth=1
	scratch_load_b128 v[3:6], off, s52 offset:16
	s_load_b32 s0, s[2:3], 0x0
	s_mov_b32 s53, s52
                                        ; implicit-def: $vgpr31
                                        ; implicit-def: $vgpr15_vgpr16
                                        ; implicit-def: $vgpr17_vgpr18
	s_wait_kmcnt 0x0
	v_cvt_f64_i32_e32 v[13:14], s0
	s_delay_alu instid0(VALU_DEP_1) | instskip(NEXT) | instid1(VALU_DEP_1)
	v_mul_f64_e32 v[13:14], s[4:5], v[13:14]
	v_ldexp_f64 v[13:14], v[13:14], -9
	s_delay_alu instid0(VALU_DEP_1) | instskip(NEXT) | instid1(VALU_DEP_1)
	v_mul_f64_e32 v[13:14], v[13:14], v[11:12]
	v_cmp_ngt_f64_e64 s0, 0x41d00000, |v[13:14]|
	v_trig_preop_f64 v[23:24], |v[13:14]|, 0
	v_trig_preop_f64 v[21:22], |v[13:14]|, 1
	v_ldexp_f64 v[25:26], |v[13:14]|, 0xffffff80
	v_trig_preop_f64 v[19:20], |v[13:14]|, 2
	v_and_b32_e32 v32, 0x7fffffff, v14
	s_and_saveexec_b32 s1, s0
	s_wait_alu 0xfffe
	s_xor_b32 s1, exec_lo, s1
	s_cbranch_execz .LBB1_4
; %bb.3:                                ;   in Loop: Header=BB1_2 Depth=1
	v_cmp_le_f64_e64 vcc_lo, 0x7b000000, |v[13:14]|
	s_mov_b32 s8, s6
	s_mov_b32 s13, s11
	s_wait_alu 0xfffd
	v_dual_cndmask_b32 v16, v32, v26 :: v_dual_cndmask_b32 v15, v13, v25
	s_delay_alu instid0(VALU_DEP_1) | instskip(SKIP_2) | instid1(VALU_DEP_3)
	v_mul_f64_e32 v[17:18], v[23:24], v[15:16]
	v_mul_f64_e32 v[27:28], v[21:22], v[15:16]
	;; [unrolled: 1-line block ×3, first 2 shown]
	v_fma_f64 v[29:30], v[23:24], v[15:16], -v[17:18]
	s_delay_alu instid0(VALU_DEP_3) | instskip(NEXT) | instid1(VALU_DEP_3)
	v_fma_f64 v[43:44], v[21:22], v[15:16], -v[27:28]
	v_fma_f64 v[15:16], v[19:20], v[15:16], -v[41:42]
	s_delay_alu instid0(VALU_DEP_3) | instskip(NEXT) | instid1(VALU_DEP_1)
	v_add_f64_e32 v[33:34], v[27:28], v[29:30]
	v_add_f64_e64 v[35:36], v[33:34], -v[27:28]
	v_add_f64_e32 v[39:40], v[17:18], v[33:34]
	s_delay_alu instid0(VALU_DEP_2) | instskip(SKIP_1) | instid1(VALU_DEP_3)
	v_add_f64_e64 v[37:38], v[33:34], -v[35:36]
	v_add_f64_e64 v[29:30], v[29:30], -v[35:36]
	v_ldexp_f64 v[35:36], v[39:40], -2
	v_add_f64_e64 v[17:18], v[39:40], -v[17:18]
	s_delay_alu instid0(VALU_DEP_4) | instskip(SKIP_1) | instid1(VALU_DEP_4)
	v_add_f64_e64 v[27:28], v[27:28], -v[37:38]
	v_add_f64_e32 v[37:38], v[41:42], v[43:44]
	v_cmp_neq_f64_e64 vcc_lo, 0x7ff00000, |v[35:36]|
	s_delay_alu instid0(VALU_DEP_4) | instskip(NEXT) | instid1(VALU_DEP_4)
	v_add_f64_e64 v[17:18], v[33:34], -v[17:18]
	v_add_f64_e32 v[27:28], v[29:30], v[27:28]
	v_fract_f64_e32 v[29:30], v[35:36]
	s_delay_alu instid0(VALU_DEP_2) | instskip(NEXT) | instid1(VALU_DEP_2)
	v_add_f64_e32 v[33:34], v[37:38], v[27:28]
	v_ldexp_f64 v[29:30], v[29:30], 2
	s_delay_alu instid0(VALU_DEP_2) | instskip(SKIP_1) | instid1(VALU_DEP_2)
	v_add_f64_e32 v[35:36], v[17:18], v[33:34]
	s_wait_alu 0xfffd
	v_dual_cndmask_b32 v30, 0, v30 :: v_dual_cndmask_b32 v29, 0, v29
	v_add_f64_e64 v[45:46], v[33:34], -v[37:38]
	s_delay_alu instid0(VALU_DEP_2) | instskip(SKIP_1) | instid1(VALU_DEP_3)
	v_add_f64_e32 v[39:40], v[35:36], v[29:30]
	v_add_f64_e64 v[17:18], v[35:36], -v[17:18]
	v_add_f64_e64 v[51:52], v[33:34], -v[45:46]
	;; [unrolled: 1-line block ×3, first 2 shown]
	s_delay_alu instid0(VALU_DEP_4) | instskip(SKIP_4) | instid1(VALU_DEP_3)
	v_cmp_gt_f64_e32 vcc_lo, 0, v[39:40]
	v_add_f64_e64 v[39:40], v[37:38], -v[41:42]
	v_add_f64_e64 v[17:18], v[33:34], -v[17:18]
	s_wait_alu 0xfffd
	v_cndmask_b32_e64 v10, 0, 0x40100000, vcc_lo
	v_add_f64_e64 v[49:50], v[37:38], -v[39:40]
	v_add_f64_e64 v[39:40], v[43:44], -v[39:40]
	;; [unrolled: 1-line block ×3, first 2 shown]
	s_delay_alu instid0(VALU_DEP_4) | instskip(NEXT) | instid1(VALU_DEP_4)
	v_add_f64_e32 v[29:30], v[29:30], v[9:10]
	v_add_f64_e64 v[43:44], v[41:42], -v[49:50]
	s_delay_alu instid0(VALU_DEP_3) | instskip(NEXT) | instid1(VALU_DEP_3)
	v_add_f64_e32 v[27:28], v[27:28], v[37:38]
	v_add_f64_e32 v[47:48], v[35:36], v[29:30]
	s_delay_alu instid0(VALU_DEP_3) | instskip(NEXT) | instid1(VALU_DEP_2)
	v_add_f64_e32 v[39:40], v[39:40], v[43:44]
	v_cvt_i32_f64_e32 v10, v[47:48]
	s_delay_alu instid0(VALU_DEP_2) | instskip(NEXT) | instid1(VALU_DEP_2)
	v_add_f64_e32 v[27:28], v[39:40], v[27:28]
	v_cvt_f64_i32_e32 v[45:46], v10
	s_delay_alu instid0(VALU_DEP_2) | instskip(NEXT) | instid1(VALU_DEP_2)
	v_add_f64_e32 v[15:16], v[15:16], v[27:28]
	v_add_f64_e64 v[29:30], v[29:30], -v[45:46]
	s_delay_alu instid0(VALU_DEP_2) | instskip(NEXT) | instid1(VALU_DEP_2)
	v_add_f64_e32 v[15:16], v[17:18], v[15:16]
	v_add_f64_e32 v[37:38], v[35:36], v[29:30]
	s_delay_alu instid0(VALU_DEP_1) | instskip(SKIP_1) | instid1(VALU_DEP_2)
	v_add_f64_e64 v[27:28], v[37:38], -v[29:30]
	v_cmp_le_f64_e32 vcc_lo, 0.5, v[37:38]
	v_add_f64_e64 v[17:18], v[35:36], -v[27:28]
	s_wait_alu 0xfffd
	v_add_co_ci_u32_e64 v31, null, 0, v10, vcc_lo
	v_cndmask_b32_e64 v10, 0, 0x3ff00000, vcc_lo
	s_delay_alu instid0(VALU_DEP_3) | instskip(NEXT) | instid1(VALU_DEP_2)
	v_add_f64_e32 v[15:16], v[15:16], v[17:18]
	v_add_f64_e64 v[17:18], v[37:38], -v[9:10]
	s_delay_alu instid0(VALU_DEP_1) | instskip(SKIP_1) | instid1(VALU_DEP_1)
	v_add_f64_e32 v[27:28], v[17:18], v[15:16]
	s_wait_alu 0xfffe
	v_mul_f64_e32 v[29:30], s[8:9], v[27:28]
	v_add_f64_e64 v[17:18], v[27:28], -v[17:18]
	s_delay_alu instid0(VALU_DEP_2) | instskip(NEXT) | instid1(VALU_DEP_2)
	v_fma_f64 v[33:34], v[27:28], s[8:9], -v[29:30]
	v_add_f64_e64 v[15:16], v[15:16], -v[17:18]
	s_delay_alu instid0(VALU_DEP_2) | instskip(NEXT) | instid1(VALU_DEP_1)
	v_fma_f64 v[17:18], v[27:28], s[12:13], v[33:34]
	v_fma_f64 v[17:18], v[15:16], s[8:9], v[17:18]
	s_delay_alu instid0(VALU_DEP_1) | instskip(NEXT) | instid1(VALU_DEP_1)
	v_add_f64_e32 v[15:16], v[29:30], v[17:18]
	v_add_f64_e64 v[27:28], v[15:16], -v[29:30]
	s_delay_alu instid0(VALU_DEP_1)
	v_add_f64_e64 v[17:18], v[17:18], -v[27:28]
	s_and_not1_saveexec_b32 s1, s1
	s_cbranch_execz .LBB1_6
	s_branch .LBB1_5
.LBB1_4:                                ;   in Loop: Header=BB1_2 Depth=1
	s_wait_alu 0xfffe
	s_and_not1_saveexec_b32 s1, s1
	s_cbranch_execz .LBB1_6
.LBB1_5:                                ;   in Loop: Header=BB1_2 Depth=1
	v_mul_f64_e64 v[15:16], |v[13:14]|, s[14:15]
	s_mov_b32 s10, s16
	s_delay_alu instid0(VALU_DEP_1) | instskip(NEXT) | instid1(VALU_DEP_1)
	v_rndne_f64_e32 v[27:28], v[15:16]
	v_fma_f64 v[15:16], v[27:28], s[6:7], |v[13:14]|
	v_mul_f64_e32 v[17:18], s[16:17], v[27:28]
	v_cvt_i32_f64_e32 v31, v[27:28]
	s_delay_alu instid0(VALU_DEP_3) | instskip(NEXT) | instid1(VALU_DEP_3)
	v_fma_f64 v[33:34], v[27:28], s[16:17], v[15:16]
	v_add_f64_e32 v[29:30], v[15:16], v[17:18]
	s_delay_alu instid0(VALU_DEP_1) | instskip(NEXT) | instid1(VALU_DEP_3)
	v_add_f64_e64 v[15:16], v[15:16], -v[29:30]
	v_add_f64_e64 v[29:30], v[29:30], -v[33:34]
	s_delay_alu instid0(VALU_DEP_2) | instskip(SKIP_2) | instid1(VALU_DEP_2)
	v_add_f64_e32 v[15:16], v[15:16], v[17:18]
	s_wait_alu 0xfffe
	v_fma_f64 v[17:18], v[27:28], s[10:11], v[17:18]
	v_add_f64_e32 v[15:16], v[29:30], v[15:16]
	s_delay_alu instid0(VALU_DEP_1) | instskip(NEXT) | instid1(VALU_DEP_1)
	v_add_f64_e64 v[15:16], v[15:16], -v[17:18]
	v_fma_f64 v[17:18], v[27:28], s[18:19], v[15:16]
	s_delay_alu instid0(VALU_DEP_1) | instskip(NEXT) | instid1(VALU_DEP_1)
	v_add_f64_e32 v[15:16], v[33:34], v[17:18]
	v_add_f64_e64 v[29:30], v[15:16], -v[33:34]
	s_delay_alu instid0(VALU_DEP_1)
	v_add_f64_e64 v[17:18], v[17:18], -v[29:30]
.LBB1_6:                                ;   in Loop: Header=BB1_2 Depth=1
	s_wait_alu 0xfffe
	s_or_b32 exec_lo, exec_lo, s1
                                        ; implicit-def: $vgpr33
                                        ; implicit-def: $vgpr27_vgpr28
                                        ; implicit-def: $vgpr29_vgpr30
	s_and_saveexec_b32 s1, s0
	s_wait_alu 0xfffe
	s_xor_b32 s0, exec_lo, s1
	s_cbranch_execz .LBB1_8
; %bb.7:                                ;   in Loop: Header=BB1_2 Depth=1
	v_cmp_le_f64_e64 vcc_lo, 0x7b000000, |v[13:14]|
	s_mov_b32 s8, s6
	s_mov_b32 s13, s11
	s_wait_alu 0xfffd
	v_dual_cndmask_b32 v26, v32, v26 :: v_dual_cndmask_b32 v25, v13, v25
	s_delay_alu instid0(VALU_DEP_1) | instskip(SKIP_2) | instid1(VALU_DEP_3)
	v_mul_f64_e32 v[27:28], v[23:24], v[25:26]
	v_mul_f64_e32 v[29:30], v[21:22], v[25:26]
	;; [unrolled: 1-line block ×3, first 2 shown]
	v_fma_f64 v[23:24], v[23:24], v[25:26], -v[27:28]
	s_delay_alu instid0(VALU_DEP_3) | instskip(NEXT) | instid1(VALU_DEP_3)
	v_fma_f64 v[21:22], v[21:22], v[25:26], -v[29:30]
	v_fma_f64 v[19:20], v[19:20], v[25:26], -v[40:41]
	s_delay_alu instid0(VALU_DEP_3) | instskip(NEXT) | instid1(VALU_DEP_1)
	v_add_f64_e32 v[32:33], v[29:30], v[23:24]
	v_add_f64_e64 v[34:35], v[32:33], -v[29:30]
	v_add_f64_e32 v[38:39], v[27:28], v[32:33]
	s_delay_alu instid0(VALU_DEP_2) | instskip(SKIP_1) | instid1(VALU_DEP_3)
	v_add_f64_e64 v[36:37], v[32:33], -v[34:35]
	v_add_f64_e64 v[23:24], v[23:24], -v[34:35]
	v_ldexp_f64 v[34:35], v[38:39], -2
	v_add_f64_e64 v[27:28], v[38:39], -v[27:28]
	s_delay_alu instid0(VALU_DEP_4) | instskip(SKIP_1) | instid1(VALU_DEP_4)
	v_add_f64_e64 v[29:30], v[29:30], -v[36:37]
	v_add_f64_e32 v[36:37], v[40:41], v[21:22]
	v_cmp_neq_f64_e64 vcc_lo, 0x7ff00000, |v[34:35]|
	s_delay_alu instid0(VALU_DEP_4) | instskip(NEXT) | instid1(VALU_DEP_4)
	v_add_f64_e64 v[27:28], v[32:33], -v[27:28]
	v_add_f64_e32 v[23:24], v[23:24], v[29:30]
	v_fract_f64_e32 v[29:30], v[34:35]
	s_delay_alu instid0(VALU_DEP_2) | instskip(NEXT) | instid1(VALU_DEP_2)
	v_add_f64_e32 v[32:33], v[36:37], v[23:24]
	v_ldexp_f64 v[29:30], v[29:30], 2
	s_delay_alu instid0(VALU_DEP_2) | instskip(SKIP_1) | instid1(VALU_DEP_2)
	v_add_f64_e32 v[34:35], v[27:28], v[32:33]
	s_wait_alu 0xfffd
	v_dual_cndmask_b32 v30, 0, v30 :: v_dual_cndmask_b32 v29, 0, v29
	v_add_f64_e64 v[42:43], v[32:33], -v[36:37]
	s_delay_alu instid0(VALU_DEP_2) | instskip(SKIP_1) | instid1(VALU_DEP_3)
	v_add_f64_e32 v[38:39], v[34:35], v[29:30]
	v_add_f64_e64 v[25:26], v[34:35], -v[27:28]
	v_add_f64_e64 v[48:49], v[32:33], -v[42:43]
	;; [unrolled: 1-line block ×3, first 2 shown]
	s_delay_alu instid0(VALU_DEP_4) | instskip(SKIP_4) | instid1(VALU_DEP_3)
	v_cmp_gt_f64_e32 vcc_lo, 0, v[38:39]
	v_add_f64_e64 v[38:39], v[36:37], -v[40:41]
	v_add_f64_e64 v[25:26], v[32:33], -v[25:26]
	s_wait_alu 0xfffd
	v_cndmask_b32_e64 v10, 0, 0x40100000, vcc_lo
	v_add_f64_e64 v[46:47], v[36:37], -v[38:39]
	v_add_f64_e64 v[21:22], v[21:22], -v[38:39]
	;; [unrolled: 1-line block ×3, first 2 shown]
	s_delay_alu instid0(VALU_DEP_4) | instskip(NEXT) | instid1(VALU_DEP_4)
	v_add_f64_e32 v[29:30], v[29:30], v[9:10]
	v_add_f64_e64 v[38:39], v[40:41], -v[46:47]
	s_delay_alu instid0(VALU_DEP_3) | instskip(NEXT) | instid1(VALU_DEP_3)
	v_add_f64_e32 v[23:24], v[23:24], v[36:37]
	v_add_f64_e32 v[44:45], v[34:35], v[29:30]
	s_delay_alu instid0(VALU_DEP_3) | instskip(NEXT) | instid1(VALU_DEP_2)
	v_add_f64_e32 v[21:22], v[21:22], v[38:39]
	v_cvt_i32_f64_e32 v10, v[44:45]
	s_delay_alu instid0(VALU_DEP_2) | instskip(NEXT) | instid1(VALU_DEP_2)
	v_add_f64_e32 v[21:22], v[21:22], v[23:24]
	v_cvt_f64_i32_e32 v[42:43], v10
	s_delay_alu instid0(VALU_DEP_2) | instskip(NEXT) | instid1(VALU_DEP_2)
	v_add_f64_e32 v[19:20], v[19:20], v[21:22]
	v_add_f64_e64 v[29:30], v[29:30], -v[42:43]
	s_delay_alu instid0(VALU_DEP_2) | instskip(NEXT) | instid1(VALU_DEP_2)
	v_add_f64_e32 v[19:20], v[25:26], v[19:20]
	v_add_f64_e32 v[23:24], v[34:35], v[29:30]
	s_delay_alu instid0(VALU_DEP_1) | instskip(SKIP_1) | instid1(VALU_DEP_2)
	v_add_f64_e64 v[21:22], v[23:24], -v[29:30]
	v_cmp_le_f64_e32 vcc_lo, 0.5, v[23:24]
	v_add_f64_e64 v[21:22], v[34:35], -v[21:22]
	s_wait_alu 0xfffd
	v_add_co_ci_u32_e64 v33, null, 0, v10, vcc_lo
	v_cndmask_b32_e64 v10, 0, 0x3ff00000, vcc_lo
	s_delay_alu instid0(VALU_DEP_3) | instskip(NEXT) | instid1(VALU_DEP_2)
	v_add_f64_e32 v[19:20], v[19:20], v[21:22]
	v_add_f64_e64 v[21:22], v[23:24], -v[9:10]
	s_delay_alu instid0(VALU_DEP_1) | instskip(SKIP_1) | instid1(VALU_DEP_1)
	v_add_f64_e32 v[23:24], v[21:22], v[19:20]
	s_wait_alu 0xfffe
	v_mul_f64_e32 v[25:26], s[8:9], v[23:24]
	v_add_f64_e64 v[21:22], v[23:24], -v[21:22]
	s_delay_alu instid0(VALU_DEP_2) | instskip(NEXT) | instid1(VALU_DEP_2)
	v_fma_f64 v[27:28], v[23:24], s[8:9], -v[25:26]
	v_add_f64_e64 v[19:20], v[19:20], -v[21:22]
	s_delay_alu instid0(VALU_DEP_2) | instskip(NEXT) | instid1(VALU_DEP_1)
	v_fma_f64 v[21:22], v[23:24], s[12:13], v[27:28]
	v_fma_f64 v[19:20], v[19:20], s[8:9], v[21:22]
	s_delay_alu instid0(VALU_DEP_1) | instskip(NEXT) | instid1(VALU_DEP_1)
	v_add_f64_e32 v[27:28], v[25:26], v[19:20]
	v_add_f64_e64 v[21:22], v[27:28], -v[25:26]
	s_delay_alu instid0(VALU_DEP_1)
	v_add_f64_e64 v[29:30], v[19:20], -v[21:22]
	s_and_not1_saveexec_b32 s0, s0
	s_cbranch_execz .LBB1_1
	s_branch .LBB1_9
.LBB1_8:                                ;   in Loop: Header=BB1_2 Depth=1
	s_wait_alu 0xfffe
	s_and_not1_saveexec_b32 s0, s0
	s_cbranch_execz .LBB1_1
.LBB1_9:                                ;   in Loop: Header=BB1_2 Depth=1
	v_mul_f64_e64 v[19:20], |v[13:14]|, s[14:15]
	s_mov_b32 s10, s16
	s_delay_alu instid0(VALU_DEP_1) | instskip(NEXT) | instid1(VALU_DEP_1)
	v_rndne_f64_e32 v[19:20], v[19:20]
	v_fma_f64 v[21:22], v[19:20], s[6:7], |v[13:14]|
	v_mul_f64_e32 v[23:24], s[16:17], v[19:20]
	v_cvt_i32_f64_e32 v33, v[19:20]
	s_delay_alu instid0(VALU_DEP_3) | instskip(NEXT) | instid1(VALU_DEP_3)
	v_fma_f64 v[29:30], v[19:20], s[16:17], v[21:22]
	v_add_f64_e32 v[25:26], v[21:22], v[23:24]
	s_delay_alu instid0(VALU_DEP_1) | instskip(NEXT) | instid1(VALU_DEP_3)
	v_add_f64_e64 v[21:22], v[21:22], -v[25:26]
	v_add_f64_e64 v[25:26], v[25:26], -v[29:30]
	s_delay_alu instid0(VALU_DEP_2) | instskip(SKIP_2) | instid1(VALU_DEP_2)
	v_add_f64_e32 v[21:22], v[21:22], v[23:24]
	s_wait_alu 0xfffe
	v_fma_f64 v[23:24], v[19:20], s[10:11], v[23:24]
	v_add_f64_e32 v[21:22], v[25:26], v[21:22]
	s_delay_alu instid0(VALU_DEP_1) | instskip(NEXT) | instid1(VALU_DEP_1)
	v_add_f64_e64 v[21:22], v[21:22], -v[23:24]
	v_fma_f64 v[21:22], v[19:20], s[18:19], v[21:22]
	s_delay_alu instid0(VALU_DEP_1) | instskip(NEXT) | instid1(VALU_DEP_1)
	v_add_f64_e32 v[27:28], v[29:30], v[21:22]
	v_add_f64_e64 v[23:24], v[27:28], -v[29:30]
	s_delay_alu instid0(VALU_DEP_1)
	v_add_f64_e64 v[29:30], v[21:22], -v[23:24]
	s_branch .LBB1_1
.LBB1_10:
	s_clause 0x6
	scratch_load_b64 v[3:4], off, off offset:64
	scratch_load_b64 v[9:10], off, off offset:32
	;; [unrolled: 1-line block ×7, first 2 shown]
	v_and_b32_e32 v31, 7, v0
	v_and_b32_e32 v5, 0x3f8, v0
	v_lshlrev_b32_e32 v6, 3, v0
	s_mov_b32 s0, 0x667f3bcd
	s_mov_b32 s1, 0x3fe6a09e
	;; [unrolled: 1-line block ×3, first 2 shown]
	v_mad_u32_u24 v5, 0x210, v31, v5
	v_add_nc_u32_e32 v21, 0x800, v6
	s_mov_b32 s6, 0x54442d18
	s_mov_b32 s14, 0x6dc9c883
	;; [unrolled: 1-line block ×36, first 2 shown]
	s_wait_alu 0xfffe
	s_mov_b32 s30, s34
	s_getpc_b64 s[2:3]
	s_sext_i32_i16 s3, s3
	s_add_co_u32 s2, s2, __const._Z10ifft1D_512P15HIP_vector_typeIdLj2EE.reversed@rel32@lo+12
	s_add_co_ci_u32 s3, s3, __const._Z10ifft1D_512P15HIP_vector_typeIdLj2EE.reversed@rel32@hi+20
	s_wait_loadcnt 0x6
	ds_store_2addr_b64 v6, v[1:2], v[3:4] offset1:66
	s_wait_loadcnt 0x2
	ds_store_2addr_b64 v6, v[9:10], v[15:16] offset0:132 offset1:198
	s_wait_loadcnt 0x0
	ds_store_2addr_b64 v21, v[13:14], v[19:20] offset0:8 offset1:74
	ds_store_2addr_b64 v21, v[11:12], v[17:18] offset0:140 offset1:206
	s_wait_storecnt_dscnt 0x0
	s_barrier_signal -1
	s_barrier_wait -1
	global_inv scope:SCOPE_SE
	ds_load_2addr_b64 v[1:4], v5 offset1:8
	ds_load_2addr_b64 v[9:12], v5 offset0:16 offset1:24
	ds_load_2addr_b64 v[13:16], v5 offset0:32 offset1:40
	;; [unrolled: 1-line block ×3, first 2 shown]
	s_wait_dscnt 0x3
	s_clause 0x1
	scratch_store_b64 off, v[1:2], off
	scratch_store_b64 off, v[3:4], off offset:16
	s_wait_dscnt 0x2
	s_clause 0x1
	scratch_store_b64 off, v[9:10], off offset:32
	scratch_store_b64 off, v[11:12], off offset:48
	s_wait_dscnt 0x1
	s_clause 0x1
	scratch_store_b64 off, v[13:14], off offset:64
	;; [unrolled: 4-line block ×3, first 2 shown]
	scratch_store_b64 off, v[19:20], off offset:112
	s_wait_loadcnt 0x0
	s_wait_storecnt 0x0
	s_barrier_signal -1
	s_barrier_wait -1
	global_inv scope:SCOPE_SE
	s_clause 0x7
	scratch_load_b64 v[1:2], off, off offset:8
	scratch_load_b64 v[3:4], off, off offset:40
	;; [unrolled: 1-line block ×8, first 2 shown]
	s_wait_loadcnt 0x3
	ds_store_2addr_b64 v6, v[1:2], v[13:14] offset1:66
	s_wait_loadcnt 0x2
	ds_store_2addr_b64 v6, v[3:4], v[15:16] offset0:132 offset1:198
	s_wait_loadcnt 0x0
	ds_store_2addr_b64 v21, v[11:12], v[19:20] offset0:8 offset1:74
	ds_store_2addr_b64 v21, v[9:10], v[17:18] offset0:140 offset1:206
	s_wait_dscnt 0x0
	s_barrier_signal -1
	s_barrier_wait -1
	global_inv scope:SCOPE_SE
	ds_load_2addr_b64 v[1:4], v5 offset1:8
	ds_load_2addr_b64 v[9:12], v5 offset0:16 offset1:24
	ds_load_2addr_b64 v[13:16], v5 offset0:32 offset1:40
	;; [unrolled: 1-line block ×3, first 2 shown]
	s_wait_dscnt 0x3
	s_clause 0x1
	scratch_store_b64 off, v[1:2], off offset:8
	scratch_store_b64 off, v[3:4], off offset:24
	s_wait_dscnt 0x2
	s_clause 0x1
	scratch_store_b64 off, v[9:10], off offset:40
	scratch_store_b64 off, v[11:12], off offset:56
	;; [unrolled: 4-line block ×4, first 2 shown]
	s_wait_loadcnt 0x0
	s_wait_storecnt 0x0
	s_barrier_signal -1
	s_barrier_wait -1
	global_inv scope:SCOPE_SE
	s_clause 0x7
	scratch_load_b128 v[1:4], off, off offset:48
	scratch_load_b128 v[9:12], off, off offset:112
	;; [unrolled: 1-line block ×6, first 2 shown]
	scratch_load_b128 v[32:35], off, off
	scratch_load_b128 v[36:39], off, off offset:64
	s_wait_loadcnt 0x6
	v_add_f64_e64 v[29:30], v[1:2], -v[9:10]
	v_add_f64_e64 v[40:41], v[3:4], -v[11:12]
	s_wait_loadcnt 0x4
	v_add_f64_e64 v[42:43], v[13:14], -v[17:18]
	v_add_f64_e64 v[44:45], v[15:16], -v[19:20]
	v_add_f64_e32 v[13:14], v[13:14], v[17:18]
	v_add_f64_e32 v[15:16], v[15:16], v[19:20]
	;; [unrolled: 1-line block ×4, first 2 shown]
	s_wait_loadcnt 0x2
	v_add_f64_e64 v[9:10], v[21:22], -v[25:26]
	v_add_f64_e64 v[11:12], v[23:24], -v[27:28]
	v_add_f64_e32 v[21:22], v[21:22], v[25:26]
	v_add_f64_e32 v[23:24], v[23:24], v[27:28]
	s_wait_loadcnt 0x0
	v_add_f64_e64 v[25:26], v[32:33], -v[36:37]
	v_add_f64_e64 v[46:47], -v[29:30], -v[40:41]
	v_add_f64_e64 v[29:30], v[29:30], -v[40:41]
	v_add_f64_e64 v[17:18], v[42:43], -v[44:45]
	v_add_f64_e32 v[19:20], v[42:43], v[44:45]
	v_add_f64_e32 v[42:43], v[32:33], v[36:37]
	v_add_f64_e32 v[44:45], v[34:35], v[38:39]
	v_add_f64_e64 v[27:28], v[13:14], -v[1:2]
	v_add_f64_e64 v[32:33], v[15:16], -v[3:4]
	;; [unrolled: 1-line block ×3, first 2 shown]
	v_fma_f64 v[36:37], v[9:10], 0, -v[11:12]
	v_fma_f64 v[9:10], v[11:12], 0, v[9:10]
	v_add_f64_e32 v[13:14], v[13:14], v[1:2]
	v_add_f64_e32 v[4:5], v[15:16], v[3:4]
	v_mul_f64_e32 v[40:41], s[0:1], v[46:47]
	v_mul_f64_e32 v[29:30], s[0:1], v[29:30]
	v_add_f64_e32 v[46:47], v[42:43], v[21:22]
	v_add_f64_e32 v[48:49], v[44:45], v[23:24]
	v_add_f64_e64 v[21:22], v[42:43], -v[21:22]
	v_add_f64_e64 v[23:24], v[44:45], -v[23:24]
	v_fma_f64 v[42:43], v[27:28], 0, -v[32:33]
	v_add_f64_e32 v[44:45], v[25:26], v[36:37]
	v_add_f64_e32 v[50:51], v[34:35], v[9:10]
	v_add_f64_e64 v[54:55], v[34:35], -v[9:10]
	v_fma_f64 v[27:28], v[32:33], 0, v[27:28]
	v_add_f64_e64 v[52:53], v[25:26], -v[36:37]
	v_lshrrev_b32_e32 v32, 3, v0
	v_mov_b32_e32 v9, 0
	v_fma_f64 v[11:12], v[17:18], s[0:1], -v[40:41]
	v_fma_f64 v[38:39], v[19:20], s[0:1], -v[29:30]
	v_fma_f64 v[40:41], v[17:18], s[0:1], v[40:41]
	v_fma_f64 v[29:30], v[19:20], s[0:1], v[29:30]
	v_add_f64_e32 v[0:1], v[46:47], v[13:14]
	v_add_f64_e32 v[2:3], v[48:49], v[4:5]
	v_add_f64_e64 v[13:14], v[46:47], -v[13:14]
	v_add_f64_e64 v[15:16], v[48:49], -v[4:5]
	v_add_f64_e32 v[17:18], v[21:22], v[42:43]
	v_add_f64_e64 v[21:22], v[21:22], -v[42:43]
	v_add_f64_e32 v[19:20], v[23:24], v[27:28]
	v_add_f64_e64 v[23:24], v[23:24], -v[27:28]
	v_fma_f64 v[56:57], v[11:12], 0, -v[38:39]
	v_fma_f64 v[10:11], v[38:39], 0, v[11:12]
	v_add_f64_e32 v[25:26], v[44:45], v[40:41]
	v_add_f64_e64 v[33:34], v[44:45], -v[40:41]
	v_add_f64_e32 v[27:28], v[50:51], v[29:30]
	v_add_f64_e64 v[35:36], v[50:51], -v[29:30]
	v_add_f64_e32 v[37:38], v[52:53], v[56:57]
	v_add_f64_e32 v[39:40], v[54:55], v[10:11]
	v_add_f64_e64 v[43:44], v[54:55], -v[10:11]
	v_cvt_f64_u32_e32 v[11:12], v32
	v_add_f64_e64 v[41:42], v[52:53], -v[56:57]
	s_clause 0x7
	scratch_store_b128 off, v[0:3], off
	scratch_store_b128 off, v[13:16], off offset:16
	scratch_store_b128 off, v[17:20], off offset:32
	;; [unrolled: 1-line block ×7, first 2 shown]
	s_branch .LBB1_12
.LBB1_11:                               ;   in Loop: Header=BB1_12 Depth=1
	s_wait_alu 0xfffe
	s_or_b32 exec_lo, exec_lo, s0
	v_mul_f64_e32 v[19:20], v[15:16], v[15:16]
	v_mul_f64_e32 v[21:22], v[27:28], v[27:28]
	s_delay_alu instid0(VALU_DEP_3) | instskip(NEXT) | instid1(VALU_DEP_4)
	v_mul_f64_e32 v[48:49], 0.5, v[17:18]
	v_mul_f64_e32 v[54:55], 0.5, v[29:30]
	v_cmp_class_f64_e64 s0, v[13:14], 0x1f8
	v_and_b32_e32 v10, 1, v33
	s_add_co_i32 s52, s52, 16
	s_add_nc_u64 s[2:3], s[2:3], 4
	s_cmp_eq_u32 s52, 0x70
	s_delay_alu instid0(VALU_DEP_1)
	v_cmp_eq_u32_e32 vcc_lo, 0, v10
	v_fma_f64 v[23:24], v[19:20], s[38:39], s[36:37]
	v_fma_f64 v[25:26], v[21:22], s[38:39], s[36:37]
	v_fma_f64 v[36:37], v[19:20], s[22:23], s[20:21]
	v_mul_f64_e32 v[38:39], 0.5, v[19:20]
	v_fma_f64 v[40:41], v[21:22], s[22:23], s[20:21]
	v_mul_f64_e32 v[42:43], 0.5, v[21:22]
	v_mul_f64_e64 v[50:51], v[15:16], -v[19:20]
	v_mul_f64_e64 v[56:57], v[27:28], -v[21:22]
	v_fma_f64 v[23:24], v[19:20], v[23:24], s[40:41]
	v_fma_f64 v[25:26], v[21:22], v[25:26], s[40:41]
	;; [unrolled: 1-line block ×3, first 2 shown]
	v_add_f64_e64 v[44:45], -v[38:39], 1.0
	v_fma_f64 v[40:41], v[21:22], v[40:41], s[24:25]
	v_add_f64_e64 v[46:47], -v[42:43], 1.0
	v_fma_f64 v[23:24], v[19:20], v[23:24], s[42:43]
	v_fma_f64 v[25:26], v[21:22], v[25:26], s[42:43]
	;; [unrolled: 1-line block ×3, first 2 shown]
	v_add_f64_e64 v[52:53], -v[44:45], 1.0
	v_fma_f64 v[40:41], v[21:22], v[40:41], s[26:27]
	v_add_f64_e64 v[58:59], -v[46:47], 1.0
	v_fma_f64 v[23:24], v[19:20], v[23:24], s[44:45]
	v_fma_f64 v[25:26], v[21:22], v[25:26], s[44:45]
	;; [unrolled: 1-line block ×3, first 2 shown]
	v_add_f64_e64 v[38:39], v[52:53], -v[38:39]
	v_fma_f64 v[40:41], v[21:22], v[40:41], s[28:29]
	v_add_f64_e64 v[42:43], v[58:59], -v[42:43]
	v_fma_f64 v[23:24], v[50:51], v[23:24], v[48:49]
	v_fma_f64 v[25:26], v[56:57], v[25:26], v[54:55]
	v_mul_f64_e32 v[48:49], v[19:20], v[19:20]
	v_fma_f64 v[36:37], v[19:20], v[36:37], s[30:31]
	v_fma_f64 v[38:39], v[15:16], -v[17:18], v[38:39]
	v_fma_f64 v[17:18], v[19:20], v[23:24], -v[17:18]
	v_mul_f64_e32 v[19:20], v[21:22], v[21:22]
	v_fma_f64 v[23:24], v[21:22], v[40:41], s[30:31]
	v_fma_f64 v[40:41], v[27:28], -v[29:30], v[42:43]
	v_fma_f64 v[21:22], v[21:22], v[25:26], -v[29:30]
	v_fma_f64 v[25:26], v[48:49], v[36:37], v[38:39]
	v_fma_f64 v[17:18], v[50:51], s[34:35], v[17:18]
	s_delay_alu instid0(VALU_DEP_4) | instskip(NEXT) | instid1(VALU_DEP_4)
	v_fma_f64 v[19:20], v[19:20], v[23:24], v[40:41]
	v_fma_f64 v[21:22], v[56:57], s[34:35], v[21:22]
	s_delay_alu instid0(VALU_DEP_4) | instskip(SKIP_1) | instid1(VALU_DEP_1)
	v_add_f64_e32 v[23:24], v[44:45], v[25:26]
	v_lshlrev_b32_e32 v13, 30, v35
	v_xor_b32_e32 v13, v13, v14
	s_delay_alu instid0(VALU_DEP_1) | instskip(SKIP_4) | instid1(VALU_DEP_3)
	v_and_b32_e32 v13, 0x80000000, v13
	v_add_f64_e64 v[15:16], v[15:16], -v[17:18]
	v_add_f64_e32 v[17:18], v[46:47], v[19:20]
	v_add_f64_e64 v[19:20], v[27:28], -v[21:22]
	s_wait_alu 0xfffd
	v_cndmask_b32_e32 v10, v15, v23, vcc_lo
	v_and_b32_e32 v15, 1, v35
	s_delay_alu instid0(VALU_DEP_1) | instskip(SKIP_1) | instid1(VALU_DEP_1)
	v_cmp_eq_u32_e64 s1, 0, v15
	s_wait_alu 0xf1ff
	v_cndmask_b32_e64 v15, v18, v20, s1
	v_cndmask_b32_e64 v14, v17, v19, s1
	s_delay_alu instid0(VALU_DEP_2) | instskip(NEXT) | instid1(VALU_DEP_2)
	v_xor_b32_e32 v15, v15, v13
	v_cndmask_b32_e64 v14, 0, v14, s0
	v_cndmask_b32_e64 v13, 0, v10, s0
	v_lshlrev_b32_e32 v10, 30, v33
	s_delay_alu instid0(VALU_DEP_4) | instskip(NEXT) | instid1(VALU_DEP_2)
	v_cndmask_b32_e64 v15, 0x7ff80000, v15, s0
	v_and_b32_e32 v10, 0x80000000, v10
	s_wait_loadcnt 0x0
	s_delay_alu instid0(VALU_DEP_2) | instskip(SKIP_2) | instid1(VALU_DEP_1)
	v_mul_f64_e32 v[17:18], v[4:5], v[14:15]
	v_mul_f64_e32 v[19:20], v[2:3], v[14:15]
	v_xor_b32_e32 v14, 0x80000000, v16
	v_cndmask_b32_e32 v14, v14, v24, vcc_lo
	s_delay_alu instid0(VALU_DEP_1) | instskip(NEXT) | instid1(VALU_DEP_1)
	v_xor_b32_e32 v10, v14, v10
	v_cndmask_b32_e64 v14, 0x7ff80000, v10, s0
	s_delay_alu instid0(VALU_DEP_1)
	v_fma_f64 v[2:3], v[2:3], v[13:14], -v[17:18]
	v_fma_f64 v[4:5], v[4:5], v[13:14], v[19:20]
	scratch_store_b128 off, v[2:5], s53 offset:16
	s_cbranch_scc1 .LBB1_20
.LBB1_12:                               ; =>This Inner Loop Header: Depth=1
	scratch_load_b128 v[2:5], off, s52 offset:16
	s_load_b32 s0, s[2:3], 0x0
	s_mov_b32 s53, s52
                                        ; implicit-def: $vgpr33
                                        ; implicit-def: $vgpr15_vgpr16
                                        ; implicit-def: $vgpr17_vgpr18
	s_wait_kmcnt 0x0
	v_cvt_f64_i32_e32 v[13:14], s0
	s_delay_alu instid0(VALU_DEP_1) | instskip(NEXT) | instid1(VALU_DEP_1)
	v_mul_f64_e32 v[13:14], s[4:5], v[13:14]
	v_ldexp_f64 v[13:14], v[13:14], -6
	s_delay_alu instid0(VALU_DEP_1) | instskip(NEXT) | instid1(VALU_DEP_1)
	v_mul_f64_e32 v[13:14], v[13:14], v[11:12]
	v_cmp_ngt_f64_e64 s0, 0x41d00000, |v[13:14]|
	v_trig_preop_f64 v[23:24], |v[13:14]|, 0
	v_trig_preop_f64 v[21:22], |v[13:14]|, 1
	v_ldexp_f64 v[25:26], |v[13:14]|, 0xffffff80
	v_trig_preop_f64 v[19:20], |v[13:14]|, 2
	v_and_b32_e32 v34, 0x7fffffff, v14
	s_and_saveexec_b32 s1, s0
	s_wait_alu 0xfffe
	s_xor_b32 s1, exec_lo, s1
	s_cbranch_execz .LBB1_14
; %bb.13:                               ;   in Loop: Header=BB1_12 Depth=1
	v_cmp_le_f64_e64 vcc_lo, 0x7b000000, |v[13:14]|
	s_mov_b32 s8, s6
	s_mov_b32 s13, s11
	s_wait_alu 0xfffd
	v_dual_cndmask_b32 v16, v34, v26 :: v_dual_cndmask_b32 v15, v13, v25
	s_delay_alu instid0(VALU_DEP_1) | instskip(SKIP_2) | instid1(VALU_DEP_3)
	v_mul_f64_e32 v[17:18], v[23:24], v[15:16]
	v_mul_f64_e32 v[27:28], v[21:22], v[15:16]
	;; [unrolled: 1-line block ×3, first 2 shown]
	v_fma_f64 v[29:30], v[23:24], v[15:16], -v[17:18]
	s_delay_alu instid0(VALU_DEP_3) | instskip(NEXT) | instid1(VALU_DEP_3)
	v_fma_f64 v[45:46], v[21:22], v[15:16], -v[27:28]
	v_fma_f64 v[15:16], v[19:20], v[15:16], -v[43:44]
	s_delay_alu instid0(VALU_DEP_3) | instskip(NEXT) | instid1(VALU_DEP_1)
	v_add_f64_e32 v[35:36], v[27:28], v[29:30]
	v_add_f64_e64 v[37:38], v[35:36], -v[27:28]
	v_add_f64_e32 v[41:42], v[17:18], v[35:36]
	s_delay_alu instid0(VALU_DEP_2) | instskip(SKIP_1) | instid1(VALU_DEP_3)
	v_add_f64_e64 v[39:40], v[35:36], -v[37:38]
	v_add_f64_e64 v[29:30], v[29:30], -v[37:38]
	v_ldexp_f64 v[37:38], v[41:42], -2
	v_add_f64_e64 v[17:18], v[41:42], -v[17:18]
	s_delay_alu instid0(VALU_DEP_4) | instskip(SKIP_1) | instid1(VALU_DEP_4)
	v_add_f64_e64 v[27:28], v[27:28], -v[39:40]
	v_add_f64_e32 v[39:40], v[43:44], v[45:46]
	v_cmp_neq_f64_e64 vcc_lo, 0x7ff00000, |v[37:38]|
	s_delay_alu instid0(VALU_DEP_4) | instskip(NEXT) | instid1(VALU_DEP_4)
	v_add_f64_e64 v[17:18], v[35:36], -v[17:18]
	v_add_f64_e32 v[27:28], v[29:30], v[27:28]
	v_fract_f64_e32 v[29:30], v[37:38]
	s_delay_alu instid0(VALU_DEP_2) | instskip(NEXT) | instid1(VALU_DEP_2)
	v_add_f64_e32 v[35:36], v[39:40], v[27:28]
	v_ldexp_f64 v[29:30], v[29:30], 2
	s_delay_alu instid0(VALU_DEP_2) | instskip(SKIP_1) | instid1(VALU_DEP_2)
	v_add_f64_e32 v[37:38], v[17:18], v[35:36]
	s_wait_alu 0xfffd
	v_dual_cndmask_b32 v30, 0, v30 :: v_dual_cndmask_b32 v29, 0, v29
	v_add_f64_e64 v[47:48], v[35:36], -v[39:40]
	s_delay_alu instid0(VALU_DEP_2) | instskip(SKIP_1) | instid1(VALU_DEP_3)
	v_add_f64_e32 v[41:42], v[37:38], v[29:30]
	v_add_f64_e64 v[17:18], v[37:38], -v[17:18]
	v_add_f64_e64 v[53:54], v[35:36], -v[47:48]
	;; [unrolled: 1-line block ×3, first 2 shown]
	s_delay_alu instid0(VALU_DEP_4) | instskip(SKIP_4) | instid1(VALU_DEP_3)
	v_cmp_gt_f64_e32 vcc_lo, 0, v[41:42]
	v_add_f64_e64 v[41:42], v[39:40], -v[43:44]
	v_add_f64_e64 v[17:18], v[35:36], -v[17:18]
	s_wait_alu 0xfffd
	v_cndmask_b32_e64 v10, 0, 0x40100000, vcc_lo
	v_add_f64_e64 v[51:52], v[39:40], -v[41:42]
	v_add_f64_e64 v[41:42], v[45:46], -v[41:42]
	;; [unrolled: 1-line block ×3, first 2 shown]
	s_delay_alu instid0(VALU_DEP_4) | instskip(NEXT) | instid1(VALU_DEP_4)
	v_add_f64_e32 v[29:30], v[29:30], v[9:10]
	v_add_f64_e64 v[45:46], v[43:44], -v[51:52]
	s_delay_alu instid0(VALU_DEP_3) | instskip(NEXT) | instid1(VALU_DEP_3)
	v_add_f64_e32 v[27:28], v[27:28], v[39:40]
	v_add_f64_e32 v[49:50], v[37:38], v[29:30]
	s_delay_alu instid0(VALU_DEP_3) | instskip(NEXT) | instid1(VALU_DEP_2)
	v_add_f64_e32 v[41:42], v[41:42], v[45:46]
	v_cvt_i32_f64_e32 v10, v[49:50]
	s_delay_alu instid0(VALU_DEP_2) | instskip(NEXT) | instid1(VALU_DEP_2)
	v_add_f64_e32 v[27:28], v[41:42], v[27:28]
	v_cvt_f64_i32_e32 v[47:48], v10
	s_delay_alu instid0(VALU_DEP_2) | instskip(NEXT) | instid1(VALU_DEP_2)
	v_add_f64_e32 v[15:16], v[15:16], v[27:28]
	v_add_f64_e64 v[29:30], v[29:30], -v[47:48]
	s_delay_alu instid0(VALU_DEP_2) | instskip(NEXT) | instid1(VALU_DEP_2)
	v_add_f64_e32 v[15:16], v[17:18], v[15:16]
	v_add_f64_e32 v[39:40], v[37:38], v[29:30]
	s_delay_alu instid0(VALU_DEP_1) | instskip(SKIP_1) | instid1(VALU_DEP_2)
	v_add_f64_e64 v[27:28], v[39:40], -v[29:30]
	v_cmp_le_f64_e32 vcc_lo, 0.5, v[39:40]
	v_add_f64_e64 v[17:18], v[37:38], -v[27:28]
	s_wait_alu 0xfffd
	v_add_co_ci_u32_e64 v33, null, 0, v10, vcc_lo
	v_cndmask_b32_e64 v10, 0, 0x3ff00000, vcc_lo
	s_delay_alu instid0(VALU_DEP_3) | instskip(NEXT) | instid1(VALU_DEP_2)
	v_add_f64_e32 v[15:16], v[15:16], v[17:18]
	v_add_f64_e64 v[17:18], v[39:40], -v[9:10]
	s_delay_alu instid0(VALU_DEP_1) | instskip(SKIP_1) | instid1(VALU_DEP_1)
	v_add_f64_e32 v[27:28], v[17:18], v[15:16]
	s_wait_alu 0xfffe
	v_mul_f64_e32 v[29:30], s[8:9], v[27:28]
	v_add_f64_e64 v[17:18], v[27:28], -v[17:18]
	s_delay_alu instid0(VALU_DEP_2) | instskip(NEXT) | instid1(VALU_DEP_2)
	v_fma_f64 v[35:36], v[27:28], s[8:9], -v[29:30]
	v_add_f64_e64 v[15:16], v[15:16], -v[17:18]
	s_delay_alu instid0(VALU_DEP_2) | instskip(NEXT) | instid1(VALU_DEP_1)
	v_fma_f64 v[17:18], v[27:28], s[12:13], v[35:36]
	v_fma_f64 v[17:18], v[15:16], s[8:9], v[17:18]
	s_delay_alu instid0(VALU_DEP_1) | instskip(NEXT) | instid1(VALU_DEP_1)
	v_add_f64_e32 v[15:16], v[29:30], v[17:18]
	v_add_f64_e64 v[27:28], v[15:16], -v[29:30]
	s_delay_alu instid0(VALU_DEP_1)
	v_add_f64_e64 v[17:18], v[17:18], -v[27:28]
	s_and_not1_saveexec_b32 s1, s1
	s_cbranch_execz .LBB1_16
	s_branch .LBB1_15
.LBB1_14:                               ;   in Loop: Header=BB1_12 Depth=1
	s_wait_alu 0xfffe
	s_and_not1_saveexec_b32 s1, s1
	s_cbranch_execz .LBB1_16
.LBB1_15:                               ;   in Loop: Header=BB1_12 Depth=1
	v_mul_f64_e64 v[15:16], |v[13:14]|, s[14:15]
	s_mov_b32 s10, s16
	s_delay_alu instid0(VALU_DEP_1) | instskip(NEXT) | instid1(VALU_DEP_1)
	v_rndne_f64_e32 v[27:28], v[15:16]
	v_fma_f64 v[15:16], v[27:28], s[6:7], |v[13:14]|
	v_mul_f64_e32 v[17:18], s[16:17], v[27:28]
	v_cvt_i32_f64_e32 v33, v[27:28]
	s_delay_alu instid0(VALU_DEP_3) | instskip(NEXT) | instid1(VALU_DEP_3)
	v_fma_f64 v[35:36], v[27:28], s[16:17], v[15:16]
	v_add_f64_e32 v[29:30], v[15:16], v[17:18]
	s_delay_alu instid0(VALU_DEP_1) | instskip(NEXT) | instid1(VALU_DEP_3)
	v_add_f64_e64 v[15:16], v[15:16], -v[29:30]
	v_add_f64_e64 v[29:30], v[29:30], -v[35:36]
	s_delay_alu instid0(VALU_DEP_2) | instskip(SKIP_2) | instid1(VALU_DEP_2)
	v_add_f64_e32 v[15:16], v[15:16], v[17:18]
	s_wait_alu 0xfffe
	v_fma_f64 v[17:18], v[27:28], s[10:11], v[17:18]
	v_add_f64_e32 v[15:16], v[29:30], v[15:16]
	s_delay_alu instid0(VALU_DEP_1) | instskip(NEXT) | instid1(VALU_DEP_1)
	v_add_f64_e64 v[15:16], v[15:16], -v[17:18]
	v_fma_f64 v[17:18], v[27:28], s[18:19], v[15:16]
	s_delay_alu instid0(VALU_DEP_1) | instskip(NEXT) | instid1(VALU_DEP_1)
	v_add_f64_e32 v[15:16], v[35:36], v[17:18]
	v_add_f64_e64 v[29:30], v[15:16], -v[35:36]
	s_delay_alu instid0(VALU_DEP_1)
	v_add_f64_e64 v[17:18], v[17:18], -v[29:30]
.LBB1_16:                               ;   in Loop: Header=BB1_12 Depth=1
	s_wait_alu 0xfffe
	s_or_b32 exec_lo, exec_lo, s1
                                        ; implicit-def: $vgpr35
                                        ; implicit-def: $vgpr27_vgpr28
                                        ; implicit-def: $vgpr29_vgpr30
	s_and_saveexec_b32 s1, s0
	s_wait_alu 0xfffe
	s_xor_b32 s0, exec_lo, s1
	s_cbranch_execz .LBB1_18
; %bb.17:                               ;   in Loop: Header=BB1_12 Depth=1
	v_cmp_le_f64_e64 vcc_lo, 0x7b000000, |v[13:14]|
	s_mov_b32 s8, s6
	s_mov_b32 s13, s11
	s_wait_alu 0xfffd
	v_dual_cndmask_b32 v26, v34, v26 :: v_dual_cndmask_b32 v25, v13, v25
	s_delay_alu instid0(VALU_DEP_1) | instskip(SKIP_2) | instid1(VALU_DEP_3)
	v_mul_f64_e32 v[27:28], v[23:24], v[25:26]
	v_mul_f64_e32 v[29:30], v[21:22], v[25:26]
	;; [unrolled: 1-line block ×3, first 2 shown]
	v_fma_f64 v[23:24], v[23:24], v[25:26], -v[27:28]
	s_delay_alu instid0(VALU_DEP_3) | instskip(NEXT) | instid1(VALU_DEP_3)
	v_fma_f64 v[21:22], v[21:22], v[25:26], -v[29:30]
	v_fma_f64 v[19:20], v[19:20], v[25:26], -v[42:43]
	s_delay_alu instid0(VALU_DEP_3) | instskip(NEXT) | instid1(VALU_DEP_1)
	v_add_f64_e32 v[34:35], v[29:30], v[23:24]
	v_add_f64_e64 v[36:37], v[34:35], -v[29:30]
	v_add_f64_e32 v[40:41], v[27:28], v[34:35]
	s_delay_alu instid0(VALU_DEP_2) | instskip(SKIP_1) | instid1(VALU_DEP_3)
	v_add_f64_e64 v[38:39], v[34:35], -v[36:37]
	v_add_f64_e64 v[23:24], v[23:24], -v[36:37]
	v_ldexp_f64 v[36:37], v[40:41], -2
	v_add_f64_e64 v[27:28], v[40:41], -v[27:28]
	s_delay_alu instid0(VALU_DEP_4) | instskip(SKIP_1) | instid1(VALU_DEP_4)
	v_add_f64_e64 v[29:30], v[29:30], -v[38:39]
	v_add_f64_e32 v[38:39], v[42:43], v[21:22]
	v_cmp_neq_f64_e64 vcc_lo, 0x7ff00000, |v[36:37]|
	s_delay_alu instid0(VALU_DEP_4) | instskip(NEXT) | instid1(VALU_DEP_4)
	v_add_f64_e64 v[27:28], v[34:35], -v[27:28]
	v_add_f64_e32 v[23:24], v[23:24], v[29:30]
	v_fract_f64_e32 v[29:30], v[36:37]
	s_delay_alu instid0(VALU_DEP_2) | instskip(NEXT) | instid1(VALU_DEP_2)
	v_add_f64_e32 v[34:35], v[38:39], v[23:24]
	v_ldexp_f64 v[29:30], v[29:30], 2
	s_delay_alu instid0(VALU_DEP_2) | instskip(SKIP_1) | instid1(VALU_DEP_2)
	v_add_f64_e32 v[36:37], v[27:28], v[34:35]
	s_wait_alu 0xfffd
	v_dual_cndmask_b32 v30, 0, v30 :: v_dual_cndmask_b32 v29, 0, v29
	v_add_f64_e64 v[44:45], v[34:35], -v[38:39]
	s_delay_alu instid0(VALU_DEP_2) | instskip(SKIP_1) | instid1(VALU_DEP_3)
	v_add_f64_e32 v[40:41], v[36:37], v[29:30]
	v_add_f64_e64 v[25:26], v[36:37], -v[27:28]
	v_add_f64_e64 v[50:51], v[34:35], -v[44:45]
	;; [unrolled: 1-line block ×3, first 2 shown]
	s_delay_alu instid0(VALU_DEP_4) | instskip(SKIP_4) | instid1(VALU_DEP_3)
	v_cmp_gt_f64_e32 vcc_lo, 0, v[40:41]
	v_add_f64_e64 v[40:41], v[38:39], -v[42:43]
	v_add_f64_e64 v[25:26], v[34:35], -v[25:26]
	s_wait_alu 0xfffd
	v_cndmask_b32_e64 v10, 0, 0x40100000, vcc_lo
	v_add_f64_e64 v[48:49], v[38:39], -v[40:41]
	v_add_f64_e64 v[21:22], v[21:22], -v[40:41]
	;; [unrolled: 1-line block ×3, first 2 shown]
	s_delay_alu instid0(VALU_DEP_4) | instskip(NEXT) | instid1(VALU_DEP_4)
	v_add_f64_e32 v[29:30], v[29:30], v[9:10]
	v_add_f64_e64 v[40:41], v[42:43], -v[48:49]
	s_delay_alu instid0(VALU_DEP_3) | instskip(NEXT) | instid1(VALU_DEP_3)
	v_add_f64_e32 v[23:24], v[23:24], v[38:39]
	v_add_f64_e32 v[46:47], v[36:37], v[29:30]
	s_delay_alu instid0(VALU_DEP_3) | instskip(NEXT) | instid1(VALU_DEP_2)
	v_add_f64_e32 v[21:22], v[21:22], v[40:41]
	v_cvt_i32_f64_e32 v10, v[46:47]
	s_delay_alu instid0(VALU_DEP_2) | instskip(NEXT) | instid1(VALU_DEP_2)
	v_add_f64_e32 v[21:22], v[21:22], v[23:24]
	v_cvt_f64_i32_e32 v[44:45], v10
	s_delay_alu instid0(VALU_DEP_2) | instskip(NEXT) | instid1(VALU_DEP_2)
	v_add_f64_e32 v[19:20], v[19:20], v[21:22]
	v_add_f64_e64 v[29:30], v[29:30], -v[44:45]
	s_delay_alu instid0(VALU_DEP_2) | instskip(NEXT) | instid1(VALU_DEP_2)
	v_add_f64_e32 v[19:20], v[25:26], v[19:20]
	v_add_f64_e32 v[23:24], v[36:37], v[29:30]
	s_delay_alu instid0(VALU_DEP_1) | instskip(SKIP_1) | instid1(VALU_DEP_2)
	v_add_f64_e64 v[21:22], v[23:24], -v[29:30]
	v_cmp_le_f64_e32 vcc_lo, 0.5, v[23:24]
	v_add_f64_e64 v[21:22], v[36:37], -v[21:22]
	s_wait_alu 0xfffd
	v_add_co_ci_u32_e64 v35, null, 0, v10, vcc_lo
	v_cndmask_b32_e64 v10, 0, 0x3ff00000, vcc_lo
	s_delay_alu instid0(VALU_DEP_3) | instskip(NEXT) | instid1(VALU_DEP_2)
	v_add_f64_e32 v[19:20], v[19:20], v[21:22]
	v_add_f64_e64 v[21:22], v[23:24], -v[9:10]
	s_delay_alu instid0(VALU_DEP_1) | instskip(SKIP_1) | instid1(VALU_DEP_1)
	v_add_f64_e32 v[23:24], v[21:22], v[19:20]
	s_wait_alu 0xfffe
	v_mul_f64_e32 v[25:26], s[8:9], v[23:24]
	v_add_f64_e64 v[21:22], v[23:24], -v[21:22]
	s_delay_alu instid0(VALU_DEP_2) | instskip(NEXT) | instid1(VALU_DEP_2)
	v_fma_f64 v[27:28], v[23:24], s[8:9], -v[25:26]
	v_add_f64_e64 v[19:20], v[19:20], -v[21:22]
	s_delay_alu instid0(VALU_DEP_2) | instskip(NEXT) | instid1(VALU_DEP_1)
	v_fma_f64 v[21:22], v[23:24], s[12:13], v[27:28]
	v_fma_f64 v[19:20], v[19:20], s[8:9], v[21:22]
	s_delay_alu instid0(VALU_DEP_1) | instskip(NEXT) | instid1(VALU_DEP_1)
	v_add_f64_e32 v[27:28], v[25:26], v[19:20]
	v_add_f64_e64 v[21:22], v[27:28], -v[25:26]
	s_delay_alu instid0(VALU_DEP_1)
	v_add_f64_e64 v[29:30], v[19:20], -v[21:22]
	s_and_not1_saveexec_b32 s0, s0
	s_cbranch_execz .LBB1_11
	s_branch .LBB1_19
.LBB1_18:                               ;   in Loop: Header=BB1_12 Depth=1
	s_wait_alu 0xfffe
	s_and_not1_saveexec_b32 s0, s0
	s_cbranch_execz .LBB1_11
.LBB1_19:                               ;   in Loop: Header=BB1_12 Depth=1
	v_mul_f64_e64 v[19:20], |v[13:14]|, s[14:15]
	s_mov_b32 s10, s16
	s_delay_alu instid0(VALU_DEP_1) | instskip(NEXT) | instid1(VALU_DEP_1)
	v_rndne_f64_e32 v[19:20], v[19:20]
	v_fma_f64 v[21:22], v[19:20], s[6:7], |v[13:14]|
	v_mul_f64_e32 v[23:24], s[16:17], v[19:20]
	v_cvt_i32_f64_e32 v35, v[19:20]
	s_delay_alu instid0(VALU_DEP_3) | instskip(NEXT) | instid1(VALU_DEP_3)
	v_fma_f64 v[29:30], v[19:20], s[16:17], v[21:22]
	v_add_f64_e32 v[25:26], v[21:22], v[23:24]
	s_delay_alu instid0(VALU_DEP_1) | instskip(NEXT) | instid1(VALU_DEP_3)
	v_add_f64_e64 v[21:22], v[21:22], -v[25:26]
	v_add_f64_e64 v[25:26], v[25:26], -v[29:30]
	s_delay_alu instid0(VALU_DEP_2) | instskip(SKIP_2) | instid1(VALU_DEP_2)
	v_add_f64_e32 v[21:22], v[21:22], v[23:24]
	s_wait_alu 0xfffe
	v_fma_f64 v[23:24], v[19:20], s[10:11], v[23:24]
	v_add_f64_e32 v[21:22], v[25:26], v[21:22]
	s_delay_alu instid0(VALU_DEP_1) | instskip(NEXT) | instid1(VALU_DEP_1)
	v_add_f64_e64 v[21:22], v[21:22], -v[23:24]
	v_fma_f64 v[21:22], v[19:20], s[18:19], v[21:22]
	s_delay_alu instid0(VALU_DEP_1) | instskip(NEXT) | instid1(VALU_DEP_1)
	v_add_f64_e32 v[27:28], v[29:30], v[21:22]
	v_add_f64_e64 v[23:24], v[27:28], -v[29:30]
	s_delay_alu instid0(VALU_DEP_1)
	v_add_f64_e64 v[29:30], v[21:22], -v[23:24]
	s_branch .LBB1_11
.LBB1_20:
	s_clause 0x6
	scratch_load_b64 v[2:3], off, off offset:64
	scratch_load_b64 v[4:5], off, off offset:32
	;; [unrolled: 1-line block ×7, first 2 shown]
	v_mul_u32_u24_e32 v19, 0x240, v32
	v_add_nc_u32_e32 v21, 0x800, v6
	s_mov_b32 s0, 0x667f3bcd
	s_mov_b32 s1, 0x3fe6a09e
	s_wait_loadcnt 0x6
	ds_store_2addr_b64 v6, v[0:1], v[2:3] offset1:72
	s_wait_loadcnt 0x2
	ds_store_2addr_b64 v6, v[4:5], v[13:14] offset0:144 offset1:216
	s_wait_loadcnt 0x0
	ds_store_2addr_b64 v21, v[11:12], v[17:18] offset0:32 offset1:104
	ds_store_2addr_b64 v21, v[9:10], v[15:16] offset0:176 offset1:248
	v_lshl_or_b32 v39, v31, 3, v19
	s_wait_storecnt_dscnt 0x0
	s_barrier_signal -1
	s_barrier_wait -1
	global_inv scope:SCOPE_SE
	ds_load_2addr_b64 v[0:3], v39 offset1:8
	ds_load_2addr_b64 v[9:12], v39 offset0:16 offset1:24
	ds_load_2addr_b64 v[13:16], v39 offset0:32 offset1:40
	;; [unrolled: 1-line block ×3, first 2 shown]
	s_wait_dscnt 0x3
	s_clause 0x1
	scratch_store_b64 off, v[0:1], off
	scratch_store_b64 off, v[2:3], off offset:16
	s_wait_dscnt 0x2
	s_clause 0x1
	scratch_store_b64 off, v[9:10], off offset:32
	scratch_store_b64 off, v[11:12], off offset:48
	s_wait_dscnt 0x1
	s_clause 0x1
	scratch_store_b64 off, v[13:14], off offset:64
	;; [unrolled: 4-line block ×3, first 2 shown]
	scratch_store_b64 off, v[19:20], off offset:112
	s_wait_loadcnt 0x0
	s_wait_storecnt 0x0
	s_barrier_signal -1
	s_barrier_wait -1
	global_inv scope:SCOPE_SE
	s_clause 0x7
	scratch_load_b64 v[0:1], off, off offset:8
	scratch_load_b64 v[2:3], off, off offset:40
	;; [unrolled: 1-line block ×8, first 2 shown]
	s_wait_loadcnt 0x3
	ds_store_2addr_b64 v6, v[0:1], v[11:12] offset1:72
	s_wait_loadcnt 0x2
	ds_store_2addr_b64 v6, v[2:3], v[13:14] offset0:144 offset1:216
	s_wait_loadcnt 0x0
	ds_store_2addr_b64 v21, v[9:10], v[17:18] offset0:32 offset1:104
	ds_store_2addr_b64 v21, v[4:5], v[15:16] offset0:176 offset1:248
	s_wait_dscnt 0x0
	s_barrier_signal -1
	s_barrier_wait -1
	global_inv scope:SCOPE_SE
	s_clause 0x7
	scratch_load_b64 v[4:5], off, off offset:112
	scratch_load_b64 v[21:22], off, off offset:48
	;; [unrolled: 1-line block ×6, first 2 shown]
	scratch_load_b64 v[31:32], off, off
	scratch_load_b64 v[33:34], off, off offset:64
	ds_load_2addr_b64 v[0:3], v39 offset0:16 offset1:24
	ds_load_2addr_b64 v[9:12], v39 offset0:48 offset1:56
	ds_load_2addr_b64 v[13:16], v39 offset1:8
	ds_load_2addr_b64 v[17:20], v39 offset0:32 offset1:40
	s_wait_dscnt 0x2
	v_add_f64_e64 v[35:36], v[2:3], -v[11:12]
	s_wait_dscnt 0x0
	v_add_f64_e64 v[39:40], v[15:16], -v[19:20]
	v_add_f64_e32 v[15:16], v[15:16], v[19:20]
	v_add_f64_e32 v[2:3], v[2:3], v[11:12]
	v_add_f64_e64 v[19:20], v[0:1], -v[9:10]
	v_add_f64_e32 v[0:1], v[0:1], v[9:10]
	s_wait_loadcnt 0x6
	v_add_f64_e64 v[37:38], v[21:22], -v[4:5]
	v_add_f64_e32 v[4:5], v[21:22], v[4:5]
	s_wait_loadcnt 0x4
	;; [unrolled: 3-line block ×4, first 2 shown]
	v_add_f64_e32 v[9:10], v[31:32], v[33:34]
	v_add_f64_e64 v[31:32], v[31:32], -v[33:34]
	v_add_f64_e64 v[43:44], -v[37:38], -v[35:36]
	v_add_f64_e64 v[35:36], v[37:38], -v[35:36]
	v_add_f64_e64 v[23:24], v[41:42], -v[39:40]
	v_add_f64_e32 v[25:26], v[41:42], v[39:40]
	v_add_f64_e32 v[39:40], v[13:14], v[17:18]
	v_add_f64_e64 v[13:14], v[13:14], -v[17:18]
	v_add_f64_e64 v[17:18], v[15:16], -v[2:3]
	;; [unrolled: 1-line block ×3, first 2 shown]
	v_fma_f64 v[33:34], v[21:22], 0, -v[19:20]
	v_fma_f64 v[19:20], v[19:20], 0, v[21:22]
	v_add_f64_e32 v[2:3], v[15:16], v[2:3]
	v_add_f64_e32 v[15:16], v[9:10], v[27:28]
	;; [unrolled: 1-line block ×3, first 2 shown]
	v_add_f64_e64 v[9:10], v[9:10], -v[27:28]
	s_wait_alu 0xfffe
	v_mul_f64_e32 v[37:38], s[0:1], v[43:44]
	v_mul_f64_e32 v[35:36], s[0:1], v[35:36]
	v_add_f64_e32 v[43:44], v[39:40], v[0:1]
	v_add_f64_e64 v[0:1], v[39:40], -v[0:1]
	v_fma_f64 v[11:12], v[29:30], 0, -v[17:18]
	v_fma_f64 v[17:18], v[17:18], 0, v[29:30]
	v_add_f64_e32 v[27:28], v[31:32], v[33:34]
	v_add_f64_e32 v[29:30], v[13:14], v[19:20]
	v_add_f64_e64 v[31:32], v[31:32], -v[33:34]
	v_add_f64_e64 v[13:14], v[13:14], -v[19:20]
	v_fma_f64 v[21:22], v[23:24], s[0:1], -v[37:38]
	v_fma_f64 v[41:42], v[25:26], s[0:1], -v[35:36]
	v_fma_f64 v[23:24], v[23:24], s[0:1], v[37:38]
	v_fma_f64 v[25:26], v[25:26], s[0:1], v[35:36]
	v_add_f64_e32 v[33:34], v[43:44], v[2:3]
	v_add_f64_e32 v[37:38], v[15:16], v[4:5]
	v_add_f64_e64 v[35:36], v[43:44], -v[2:3]
	v_add_f64_e64 v[4:5], v[15:16], -v[4:5]
	v_add_f64_e32 v[15:16], v[9:10], v[11:12]
	v_add_f64_e32 v[39:40], v[0:1], v[17:18]
	v_add_f64_e64 v[43:44], v[0:1], -v[17:18]
	v_fma_f64 v[19:20], v[21:22], 0, -v[41:42]
	v_fma_f64 v[21:22], v[41:42], 0, v[21:22]
	v_add_f64_e64 v[41:42], v[9:10], -v[11:12]
	v_add_f64_e32 v[45:46], v[27:28], v[23:24]
	v_add_f64_e32 v[47:48], v[29:30], v[25:26]
	v_add_f64_e64 v[27:28], v[27:28], -v[23:24]
	v_add_f64_e64 v[29:30], v[29:30], -v[25:26]
	v_ldexp_f64 v[2:3], v[33:34], -9
	v_ldexp_f64 v[0:1], v[37:38], -9
	;; [unrolled: 1-line block ×4, first 2 shown]
	v_add_co_u32 v4, vcc_lo, v7, 0x1c00
	s_wait_alu 0xfffd
	v_add_co_ci_u32_e64 v5, null, 0, v8, vcc_lo
	s_clause 0x1
	scratch_store_b128 off, v[0:3], off
	scratch_store_b128 off, v[9:12], off offset:16
	v_add_f64_e32 v[49:50], v[31:32], v[19:20]
	v_add_f64_e32 v[51:52], v[13:14], v[21:22]
	v_add_f64_e64 v[53:54], v[31:32], -v[19:20]
	v_add_f64_e64 v[55:56], v[13:14], -v[21:22]
	v_ldexp_f64 v[13:14], v[15:16], -9
	v_ldexp_f64 v[15:16], v[39:40], -9
	;; [unrolled: 1-line block ×8, first 2 shown]
	scratch_load_b128 v[0:3], off, off
	s_clause 0x1
	scratch_store_b128 off, v[13:16], off offset:32
	scratch_store_b128 off, v[17:20], off offset:48
	v_ldexp_f64 v[29:30], v[49:50], -9
	v_ldexp_f64 v[31:32], v[51:52], -9
	v_ldexp_f64 v[33:34], v[53:54], -9
	v_ldexp_f64 v[35:36], v[55:56], -9
	s_clause 0x1
	scratch_load_b128 v[9:12], off, s48
	scratch_load_b128 v[13:16], off, s46
	s_clause 0x1
	scratch_store_b128 off, v[21:24], off offset:64
	scratch_store_b128 off, v[25:28], off offset:80
	scratch_load_b128 v[17:20], off, s47
	scratch_store_b128 off, v[29:32], off offset:96
	s_clause 0x2
	scratch_load_b128 v[21:24], off, s51
	scratch_load_b128 v[25:28], off, s33
	;; [unrolled: 1-line block ×3, first 2 shown]
	scratch_store_b128 off, v[33:36], off offset:112
	scratch_load_b128 v[33:36], off, s49
	s_wait_loadcnt 0x7
	global_store_b128 v[7:8], v[0:3], off
	s_wait_loadcnt 0x4
	s_clause 0x1
	global_store_b128 v[4:5], v[17:20], off offset:-6144
	global_store_b128 v[4:5], v[9:12], off offset:-5120
	s_wait_loadcnt 0x3
	s_clause 0x1
	global_store_b128 v[4:5], v[21:24], off offset:-4096
	global_store_b128 v[4:5], v[13:16], off offset:-3072
	;; [unrolled: 4-line block ×3, first 2 shown]
	s_wait_loadcnt 0x0
	global_store_b128 v[4:5], v[33:36], off
	s_endpgm
	.section	.rodata,"a",@progbits
	.p2align	6, 0x0
	.amdhsa_kernel _Z10ifft1D_512P15HIP_vector_typeIdLj2EE
		.amdhsa_group_segment_fixed_size 4608
		.amdhsa_private_segment_fixed_size 144
		.amdhsa_kernarg_size 8
		.amdhsa_user_sgpr_count 2
		.amdhsa_user_sgpr_dispatch_ptr 0
		.amdhsa_user_sgpr_queue_ptr 0
		.amdhsa_user_sgpr_kernarg_segment_ptr 1
		.amdhsa_user_sgpr_dispatch_id 0
		.amdhsa_user_sgpr_private_segment_size 0
		.amdhsa_wavefront_size32 1
		.amdhsa_uses_dynamic_stack 0
		.amdhsa_enable_private_segment 1
		.amdhsa_system_sgpr_workgroup_id_x 1
		.amdhsa_system_sgpr_workgroup_id_y 0
		.amdhsa_system_sgpr_workgroup_id_z 0
		.amdhsa_system_sgpr_workgroup_info 0
		.amdhsa_system_vgpr_workitem_id 0
		.amdhsa_next_free_vgpr 60
		.amdhsa_next_free_sgpr 54
		.amdhsa_reserve_vcc 1
		.amdhsa_float_round_mode_32 0
		.amdhsa_float_round_mode_16_64 0
		.amdhsa_float_denorm_mode_32 3
		.amdhsa_float_denorm_mode_16_64 3
		.amdhsa_fp16_overflow 0
		.amdhsa_workgroup_processor_mode 1
		.amdhsa_memory_ordered 1
		.amdhsa_forward_progress 1
		.amdhsa_inst_pref_size 69
		.amdhsa_round_robin_scheduling 0
		.amdhsa_exception_fp_ieee_invalid_op 0
		.amdhsa_exception_fp_denorm_src 0
		.amdhsa_exception_fp_ieee_div_zero 0
		.amdhsa_exception_fp_ieee_overflow 0
		.amdhsa_exception_fp_ieee_underflow 0
		.amdhsa_exception_fp_ieee_inexact 0
		.amdhsa_exception_int_div_zero 0
	.end_amdhsa_kernel
	.text
.Lfunc_end1:
	.size	_Z10ifft1D_512P15HIP_vector_typeIdLj2EE, .Lfunc_end1-_Z10ifft1D_512P15HIP_vector_typeIdLj2EE
                                        ; -- End function
	.set _Z10ifft1D_512P15HIP_vector_typeIdLj2EE.num_vgpr, 60
	.set _Z10ifft1D_512P15HIP_vector_typeIdLj2EE.num_agpr, 0
	.set _Z10ifft1D_512P15HIP_vector_typeIdLj2EE.numbered_sgpr, 54
	.set _Z10ifft1D_512P15HIP_vector_typeIdLj2EE.num_named_barrier, 0
	.set _Z10ifft1D_512P15HIP_vector_typeIdLj2EE.private_seg_size, 144
	.set _Z10ifft1D_512P15HIP_vector_typeIdLj2EE.uses_vcc, 1
	.set _Z10ifft1D_512P15HIP_vector_typeIdLj2EE.uses_flat_scratch, 1
	.set _Z10ifft1D_512P15HIP_vector_typeIdLj2EE.has_dyn_sized_stack, 0
	.set _Z10ifft1D_512P15HIP_vector_typeIdLj2EE.has_recursion, 0
	.set _Z10ifft1D_512P15HIP_vector_typeIdLj2EE.has_indirect_call, 0
	.section	.AMDGPU.csdata,"",@progbits
; Kernel info:
; codeLenInByte = 8720
; TotalNumSgprs: 56
; NumVgprs: 60
; ScratchSize: 144
; MemoryBound: 0
; FloatMode: 240
; IeeeMode: 1
; LDSByteSize: 4608 bytes/workgroup (compile time only)
; SGPRBlocks: 0
; VGPRBlocks: 7
; NumSGPRsForWavesPerEU: 56
; NumVGPRsForWavesPerEU: 60
; Occupancy: 16
; WaveLimiterHint : 1
; COMPUTE_PGM_RSRC2:SCRATCH_EN: 1
; COMPUTE_PGM_RSRC2:USER_SGPR: 2
; COMPUTE_PGM_RSRC2:TRAP_HANDLER: 0
; COMPUTE_PGM_RSRC2:TGID_X_EN: 1
; COMPUTE_PGM_RSRC2:TGID_Y_EN: 0
; COMPUTE_PGM_RSRC2:TGID_Z_EN: 0
; COMPUTE_PGM_RSRC2:TIDIG_COMP_CNT: 0
	.text
	.p2alignl 7, 3214868480
	.fill 96, 4, 3214868480
	.section	.AMDGPU.gpr_maximums,"",@progbits
	.set amdgpu.max_num_vgpr, 0
	.set amdgpu.max_num_agpr, 0
	.set amdgpu.max_num_sgpr, 0
	.text
	.type	__const._Z9fft1D_512P15HIP_vector_typeIdLj2EE.reversed,@object ; @__const._Z9fft1D_512P15HIP_vector_typeIdLj2EE.reversed
	.section	.rodata.cst32,"aM",@progbits,32
	.p2align	4, 0x0
__const._Z9fft1D_512P15HIP_vector_typeIdLj2EE.reversed:
	.long	0                               ; 0x0
	.long	4                               ; 0x4
	;; [unrolled: 1-line block ×8, first 2 shown]
	.size	__const._Z9fft1D_512P15HIP_vector_typeIdLj2EE.reversed, 32

	.type	__const._Z10ifft1D_512P15HIP_vector_typeIdLj2EE.reversed,@object ; @__const._Z10ifft1D_512P15HIP_vector_typeIdLj2EE.reversed
	.p2align	4, 0x0
__const._Z10ifft1D_512P15HIP_vector_typeIdLj2EE.reversed:
	.long	0                               ; 0x0
	.long	4                               ; 0x4
	;; [unrolled: 1-line block ×8, first 2 shown]
	.size	__const._Z10ifft1D_512P15HIP_vector_typeIdLj2EE.reversed, 32

	.type	__hip_cuid_5efc9ba0af9bab53,@object ; @__hip_cuid_5efc9ba0af9bab53
	.section	.bss,"aw",@nobits
	.globl	__hip_cuid_5efc9ba0af9bab53
__hip_cuid_5efc9ba0af9bab53:
	.byte	0                               ; 0x0
	.size	__hip_cuid_5efc9ba0af9bab53, 1

	.ident	"AMD clang version 22.0.0git (https://github.com/RadeonOpenCompute/llvm-project roc-7.2.4 26084 f58b06dce1f9c15707c5f808fd002e18c2accf7e)"
	.section	".note.GNU-stack","",@progbits
	.addrsig
	.addrsig_sym __hip_cuid_5efc9ba0af9bab53
	.amdgpu_metadata
---
amdhsa.kernels:
  - .args:
      - .address_space:  global
        .offset:         0
        .size:           8
        .value_kind:     global_buffer
    .group_segment_fixed_size: 4608
    .kernarg_segment_align: 8
    .kernarg_segment_size: 8
    .language:       OpenCL C
    .language_version:
      - 2
      - 0
    .max_flat_workgroup_size: 1024
    .name:           _Z9fft1D_512P15HIP_vector_typeIdLj2EE
    .private_segment_fixed_size: 144
    .sgpr_count:     56
    .sgpr_spill_count: 0
    .symbol:         _Z9fft1D_512P15HIP_vector_typeIdLj2EE.kd
    .uniform_work_group_size: 1
    .uses_dynamic_stack: false
    .vgpr_count:     60
    .vgpr_spill_count: 0
    .wavefront_size: 32
    .workgroup_processor_mode: 1
  - .args:
      - .address_space:  global
        .offset:         0
        .size:           8
        .value_kind:     global_buffer
    .group_segment_fixed_size: 4608
    .kernarg_segment_align: 8
    .kernarg_segment_size: 8
    .language:       OpenCL C
    .language_version:
      - 2
      - 0
    .max_flat_workgroup_size: 1024
    .name:           _Z10ifft1D_512P15HIP_vector_typeIdLj2EE
    .private_segment_fixed_size: 144
    .sgpr_count:     56
    .sgpr_spill_count: 0
    .symbol:         _Z10ifft1D_512P15HIP_vector_typeIdLj2EE.kd
    .uniform_work_group_size: 1
    .uses_dynamic_stack: false
    .vgpr_count:     60
    .vgpr_spill_count: 0
    .wavefront_size: 32
    .workgroup_processor_mode: 1
amdhsa.target:   amdgcn-amd-amdhsa--gfx1201
amdhsa.version:
  - 1
  - 2
...

	.end_amdgpu_metadata
